;; amdgpu-corpus repo=ROCm/rocFFT kind=compiled arch=gfx1030 opt=O3
	.text
	.amdgcn_target "amdgcn-amd-amdhsa--gfx1030"
	.amdhsa_code_object_version 6
	.protected	fft_rtc_back_len1375_factors_11_5_5_5_wgs_55_tpt_55_halfLds_dp_ip_CI_unitstride_sbrr_dirReg ; -- Begin function fft_rtc_back_len1375_factors_11_5_5_5_wgs_55_tpt_55_halfLds_dp_ip_CI_unitstride_sbrr_dirReg
	.globl	fft_rtc_back_len1375_factors_11_5_5_5_wgs_55_tpt_55_halfLds_dp_ip_CI_unitstride_sbrr_dirReg
	.p2align	8
	.type	fft_rtc_back_len1375_factors_11_5_5_5_wgs_55_tpt_55_halfLds_dp_ip_CI_unitstride_sbrr_dirReg,@function
fft_rtc_back_len1375_factors_11_5_5_5_wgs_55_tpt_55_halfLds_dp_ip_CI_unitstride_sbrr_dirReg: ; @fft_rtc_back_len1375_factors_11_5_5_5_wgs_55_tpt_55_halfLds_dp_ip_CI_unitstride_sbrr_dirReg
; %bb.0:
	s_clause 0x2
	s_load_dwordx4 s[8:11], s[4:5], 0x0
	s_load_dwordx2 s[2:3], s[4:5], 0x50
	s_load_dwordx2 s[12:13], s[4:5], 0x18
	v_mul_u32_u24_e32 v1, 0x4a8, v0
	v_mov_b32_e32 v3, 0
	v_add_nc_u32_sdwa v5, s6, v1 dst_sel:DWORD dst_unused:UNUSED_PAD src0_sel:DWORD src1_sel:WORD_1
	v_mov_b32_e32 v1, 0
	v_mov_b32_e32 v6, v3
	v_mov_b32_e32 v2, 0
	s_waitcnt lgkmcnt(0)
	v_cmp_lt_u64_e64 s0, s[10:11], 2
	s_and_b32 vcc_lo, exec_lo, s0
	s_cbranch_vccnz .LBB0_8
; %bb.1:
	s_load_dwordx2 s[0:1], s[4:5], 0x10
	v_mov_b32_e32 v1, 0
	s_add_u32 s6, s12, 8
	v_mov_b32_e32 v2, 0
	s_addc_u32 s7, s13, 0
	s_mov_b64 s[16:17], 1
	s_waitcnt lgkmcnt(0)
	s_add_u32 s14, s0, 8
	s_addc_u32 s15, s1, 0
.LBB0_2:                                ; =>This Inner Loop Header: Depth=1
	s_load_dwordx2 s[18:19], s[14:15], 0x0
                                        ; implicit-def: $vgpr7_vgpr8
	s_mov_b32 s0, exec_lo
	s_waitcnt lgkmcnt(0)
	v_or_b32_e32 v4, s19, v6
	v_cmpx_ne_u64_e32 0, v[3:4]
	s_xor_b32 s1, exec_lo, s0
	s_cbranch_execz .LBB0_4
; %bb.3:                                ;   in Loop: Header=BB0_2 Depth=1
	v_cvt_f32_u32_e32 v4, s18
	v_cvt_f32_u32_e32 v7, s19
	s_sub_u32 s0, 0, s18
	s_subb_u32 s20, 0, s19
	v_fmac_f32_e32 v4, 0x4f800000, v7
	v_rcp_f32_e32 v4, v4
	v_mul_f32_e32 v4, 0x5f7ffffc, v4
	v_mul_f32_e32 v7, 0x2f800000, v4
	v_trunc_f32_e32 v7, v7
	v_fmac_f32_e32 v4, 0xcf800000, v7
	v_cvt_u32_f32_e32 v7, v7
	v_cvt_u32_f32_e32 v4, v4
	v_mul_lo_u32 v8, s0, v7
	v_mul_hi_u32 v9, s0, v4
	v_mul_lo_u32 v10, s20, v4
	v_add_nc_u32_e32 v8, v9, v8
	v_mul_lo_u32 v9, s0, v4
	v_add_nc_u32_e32 v8, v8, v10
	v_mul_hi_u32 v10, v4, v9
	v_mul_lo_u32 v11, v4, v8
	v_mul_hi_u32 v12, v4, v8
	v_mul_hi_u32 v13, v7, v9
	v_mul_lo_u32 v9, v7, v9
	v_mul_hi_u32 v14, v7, v8
	v_mul_lo_u32 v8, v7, v8
	v_add_co_u32 v10, vcc_lo, v10, v11
	v_add_co_ci_u32_e32 v11, vcc_lo, 0, v12, vcc_lo
	v_add_co_u32 v9, vcc_lo, v10, v9
	v_add_co_ci_u32_e32 v9, vcc_lo, v11, v13, vcc_lo
	v_add_co_ci_u32_e32 v10, vcc_lo, 0, v14, vcc_lo
	v_add_co_u32 v8, vcc_lo, v9, v8
	v_add_co_ci_u32_e32 v9, vcc_lo, 0, v10, vcc_lo
	v_add_co_u32 v4, vcc_lo, v4, v8
	v_add_co_ci_u32_e32 v7, vcc_lo, v7, v9, vcc_lo
	v_mul_hi_u32 v8, s0, v4
	v_mul_lo_u32 v10, s20, v4
	v_mul_lo_u32 v9, s0, v7
	v_add_nc_u32_e32 v8, v8, v9
	v_mul_lo_u32 v9, s0, v4
	v_add_nc_u32_e32 v8, v8, v10
	v_mul_hi_u32 v10, v4, v9
	v_mul_lo_u32 v11, v4, v8
	v_mul_hi_u32 v12, v4, v8
	v_mul_hi_u32 v13, v7, v9
	v_mul_lo_u32 v9, v7, v9
	v_mul_hi_u32 v14, v7, v8
	v_mul_lo_u32 v8, v7, v8
	v_add_co_u32 v10, vcc_lo, v10, v11
	v_add_co_ci_u32_e32 v11, vcc_lo, 0, v12, vcc_lo
	v_add_co_u32 v9, vcc_lo, v10, v9
	v_add_co_ci_u32_e32 v9, vcc_lo, v11, v13, vcc_lo
	v_add_co_ci_u32_e32 v10, vcc_lo, 0, v14, vcc_lo
	v_add_co_u32 v8, vcc_lo, v9, v8
	v_add_co_ci_u32_e32 v9, vcc_lo, 0, v10, vcc_lo
	v_add_co_u32 v4, vcc_lo, v4, v8
	v_add_co_ci_u32_e32 v11, vcc_lo, v7, v9, vcc_lo
	v_mul_hi_u32 v13, v5, v4
	v_mad_u64_u32 v[9:10], null, v6, v4, 0
	v_mad_u64_u32 v[7:8], null, v5, v11, 0
	;; [unrolled: 1-line block ×3, first 2 shown]
	v_add_co_u32 v4, vcc_lo, v13, v7
	v_add_co_ci_u32_e32 v7, vcc_lo, 0, v8, vcc_lo
	v_add_co_u32 v4, vcc_lo, v4, v9
	v_add_co_ci_u32_e32 v4, vcc_lo, v7, v10, vcc_lo
	v_add_co_ci_u32_e32 v7, vcc_lo, 0, v12, vcc_lo
	v_add_co_u32 v4, vcc_lo, v4, v11
	v_add_co_ci_u32_e32 v9, vcc_lo, 0, v7, vcc_lo
	v_mul_lo_u32 v10, s19, v4
	v_mad_u64_u32 v[7:8], null, s18, v4, 0
	v_mul_lo_u32 v11, s18, v9
	v_sub_co_u32 v7, vcc_lo, v5, v7
	v_add3_u32 v8, v8, v11, v10
	v_sub_nc_u32_e32 v10, v6, v8
	v_subrev_co_ci_u32_e64 v10, s0, s19, v10, vcc_lo
	v_add_co_u32 v11, s0, v4, 2
	v_add_co_ci_u32_e64 v12, s0, 0, v9, s0
	v_sub_co_u32 v13, s0, v7, s18
	v_sub_co_ci_u32_e32 v8, vcc_lo, v6, v8, vcc_lo
	v_subrev_co_ci_u32_e64 v10, s0, 0, v10, s0
	v_cmp_le_u32_e32 vcc_lo, s18, v13
	v_cmp_eq_u32_e64 s0, s19, v8
	v_cndmask_b32_e64 v13, 0, -1, vcc_lo
	v_cmp_le_u32_e32 vcc_lo, s19, v10
	v_cndmask_b32_e64 v14, 0, -1, vcc_lo
	v_cmp_le_u32_e32 vcc_lo, s18, v7
	;; [unrolled: 2-line block ×3, first 2 shown]
	v_cndmask_b32_e64 v15, 0, -1, vcc_lo
	v_cmp_eq_u32_e32 vcc_lo, s19, v10
	v_cndmask_b32_e64 v7, v15, v7, s0
	v_cndmask_b32_e32 v10, v14, v13, vcc_lo
	v_add_co_u32 v13, vcc_lo, v4, 1
	v_add_co_ci_u32_e32 v14, vcc_lo, 0, v9, vcc_lo
	v_cmp_ne_u32_e32 vcc_lo, 0, v10
	v_cndmask_b32_e32 v8, v14, v12, vcc_lo
	v_cndmask_b32_e32 v10, v13, v11, vcc_lo
	v_cmp_ne_u32_e32 vcc_lo, 0, v7
	v_cndmask_b32_e32 v8, v9, v8, vcc_lo
	v_cndmask_b32_e32 v7, v4, v10, vcc_lo
.LBB0_4:                                ;   in Loop: Header=BB0_2 Depth=1
	s_andn2_saveexec_b32 s0, s1
	s_cbranch_execz .LBB0_6
; %bb.5:                                ;   in Loop: Header=BB0_2 Depth=1
	v_cvt_f32_u32_e32 v4, s18
	s_sub_i32 s1, 0, s18
	v_rcp_iflag_f32_e32 v4, v4
	v_mul_f32_e32 v4, 0x4f7ffffe, v4
	v_cvt_u32_f32_e32 v4, v4
	v_mul_lo_u32 v7, s1, v4
	v_mul_hi_u32 v7, v4, v7
	v_add_nc_u32_e32 v4, v4, v7
	v_mul_hi_u32 v4, v5, v4
	v_mul_lo_u32 v7, v4, s18
	v_add_nc_u32_e32 v8, 1, v4
	v_sub_nc_u32_e32 v7, v5, v7
	v_subrev_nc_u32_e32 v9, s18, v7
	v_cmp_le_u32_e32 vcc_lo, s18, v7
	v_cndmask_b32_e32 v7, v7, v9, vcc_lo
	v_cndmask_b32_e32 v4, v4, v8, vcc_lo
	v_cmp_le_u32_e32 vcc_lo, s18, v7
	v_add_nc_u32_e32 v8, 1, v4
	v_cndmask_b32_e32 v7, v4, v8, vcc_lo
	v_mov_b32_e32 v8, v3
.LBB0_6:                                ;   in Loop: Header=BB0_2 Depth=1
	s_or_b32 exec_lo, exec_lo, s0
	s_load_dwordx2 s[0:1], s[6:7], 0x0
	v_mul_lo_u32 v4, v8, s18
	v_mul_lo_u32 v11, v7, s19
	v_mad_u64_u32 v[9:10], null, v7, s18, 0
	s_add_u32 s16, s16, 1
	s_addc_u32 s17, s17, 0
	s_add_u32 s6, s6, 8
	s_addc_u32 s7, s7, 0
	;; [unrolled: 2-line block ×3, first 2 shown]
	v_add3_u32 v4, v10, v11, v4
	v_sub_co_u32 v5, vcc_lo, v5, v9
	v_sub_co_ci_u32_e32 v4, vcc_lo, v6, v4, vcc_lo
	s_waitcnt lgkmcnt(0)
	v_mul_lo_u32 v6, s1, v5
	v_mul_lo_u32 v4, s0, v4
	v_mad_u64_u32 v[1:2], null, s0, v5, v[1:2]
	v_cmp_ge_u64_e64 s0, s[16:17], s[10:11]
	s_and_b32 vcc_lo, exec_lo, s0
	v_add3_u32 v2, v6, v2, v4
	s_cbranch_vccnz .LBB0_9
; %bb.7:                                ;   in Loop: Header=BB0_2 Depth=1
	v_mov_b32_e32 v5, v7
	v_mov_b32_e32 v6, v8
	s_branch .LBB0_2
.LBB0_8:
	v_mov_b32_e32 v8, v6
	v_mov_b32_e32 v7, v5
.LBB0_9:
	s_lshl_b64 s[0:1], s[10:11], 3
	v_mul_hi_u32 v5, 0x4a7904b, v0
	s_add_u32 s0, s12, s0
	s_addc_u32 s1, s13, s1
                                        ; implicit-def: $vgpr10_vgpr11
                                        ; implicit-def: $vgpr14_vgpr15
                                        ; implicit-def: $vgpr22_vgpr23
                                        ; implicit-def: $vgpr26_vgpr27
                                        ; implicit-def: $vgpr30_vgpr31
                                        ; implicit-def: $vgpr34_vgpr35
                                        ; implicit-def: $vgpr38_vgpr39
                                        ; implicit-def: $vgpr46_vgpr47
                                        ; implicit-def: $vgpr18_vgpr19
                                        ; implicit-def: $vgpr42_vgpr43
                                        ; implicit-def: $vgpr50_vgpr51
                                        ; implicit-def: $vgpr66_vgpr67
                                        ; implicit-def: $vgpr74_vgpr75
                                        ; implicit-def: $vgpr58_vgpr59
                                        ; implicit-def: $vgpr54_vgpr55
                                        ; implicit-def: $vgpr70_vgpr71
                                        ; implicit-def: $vgpr94_vgpr95
                                        ; implicit-def: $vgpr102_vgpr103
                                        ; implicit-def: $vgpr126_vgpr127
                                        ; implicit-def: $vgpr62_vgpr63
                                        ; implicit-def: $vgpr78_vgpr79
                                        ; implicit-def: $vgpr86_vgpr87
                                        ; implicit-def: $vgpr90_vgpr91
                                        ; implicit-def: $vgpr98_vgpr99
                                        ; implicit-def: $vgpr106_vgpr107
                                        ; implicit-def: $vgpr110_vgpr111
                                        ; implicit-def: $vgpr114_vgpr115
                                        ; implicit-def: $vgpr122_vgpr123
                                        ; implicit-def: $vgpr118_vgpr119
                                        ; implicit-def: $vgpr130_vgpr131
                                        ; implicit-def: $vgpr82_vgpr83
	s_load_dwordx2 s[0:1], s[0:1], 0x0
	s_load_dwordx2 s[4:5], s[4:5], 0x20
	s_waitcnt lgkmcnt(0)
	v_mul_lo_u32 v3, s0, v8
	v_mul_lo_u32 v4, s1, v7
	v_mad_u64_u32 v[1:2], null, s0, v7, v[1:2]
	v_cmp_gt_u64_e32 vcc_lo, s[4:5], v[7:8]
                                        ; implicit-def: $vgpr6_vgpr7
	v_add3_u32 v2, v4, v2, v3
	v_mul_u32_u24_e32 v3, 55, v5
	v_lshlrev_b64 v[178:179], 4, v[1:2]
	v_sub_nc_u32_e32 v176, v0, v3
                                        ; implicit-def: $vgpr2_vgpr3
	s_and_saveexec_b32 s1, vcc_lo
	s_cbranch_execz .LBB0_13
; %bb.10:
	v_mov_b32_e32 v177, 0
	v_add_co_u32 v140, s0, s2, v178
	v_add_co_ci_u32_e64 v141, s0, s3, v179, s0
	v_lshlrev_b64 v[0:1], 4, v[176:177]
	s_mov_b32 s4, exec_lo
                                        ; implicit-def: $vgpr16_vgpr17
                                        ; implicit-def: $vgpr44_vgpr45
                                        ; implicit-def: $vgpr36_vgpr37
                                        ; implicit-def: $vgpr32_vgpr33
                                        ; implicit-def: $vgpr28_vgpr29
                                        ; implicit-def: $vgpr24_vgpr25
                                        ; implicit-def: $vgpr20_vgpr21
                                        ; implicit-def: $vgpr12_vgpr13
                                        ; implicit-def: $vgpr8_vgpr9
                                        ; implicit-def: $vgpr4_vgpr5
	v_add_co_u32 v2, s0, v140, v0
	v_add_co_ci_u32_e64 v3, s0, v141, v1, s0
	v_add_co_u32 v6, s0, 0x800, v2
	v_add_co_ci_u32_e64 v7, s0, 0, v3, s0
	;; [unrolled: 2-line block ×10, first 2 shown]
	v_add_co_u32 v0, s0, 0x5000, v2
	s_clause 0x5
	global_load_dwordx4 v[80:83], v[2:3], off
	global_load_dwordx4 v[60:63], v[2:3], off offset:880
	global_load_dwordx4 v[128:131], v[2:3], off offset:2000
	global_load_dwordx4 v[124:127], v[6:7], off offset:832
	global_load_dwordx4 v[116:119], v[6:7], off offset:1952
	global_load_dwordx4 v[100:103], v[10:11], off offset:784
	v_add_co_ci_u32_e64 v1, s0, 0, v3, s0
	s_clause 0xf
	global_load_dwordx4 v[120:123], v[10:11], off offset:1904
	global_load_dwordx4 v[92:95], v[14:15], off offset:736
	;; [unrolled: 1-line block ×16, first 2 shown]
                                        ; implicit-def: $vgpr0_vgpr1
	v_cmpx_gt_u32_e32 15, v176
; %bb.11:
	v_or_b32_e32 v0, 0x550, v176
	v_mov_b32_e32 v1, v177
	s_clause 0x5
	global_load_dwordx4 v[16:19], v[2:3], off offset:1760
	global_load_dwordx4 v[44:47], v[6:7], off offset:1712
	global_load_dwordx4 v[36:39], v[10:11], off offset:1664
	global_load_dwordx4 v[32:35], v[14:15], off offset:1616
	global_load_dwordx4 v[28:31], v[22:23], off offset:1568
	global_load_dwordx4 v[24:27], v[26:27], off offset:1520
	v_lshlrev_b64 v[0:1], 4, v[0:1]
	v_add_co_u32 v0, s0, v140, v0
	v_add_co_ci_u32_e64 v1, s0, v141, v1, s0
	s_clause 0x4
	global_load_dwordx4 v[20:23], v[132:133], off offset:1472
	global_load_dwordx4 v[12:15], v[134:135], off offset:1424
	;; [unrolled: 1-line block ×4, first 2 shown]
	global_load_dwordx4 v[0:3], v[0:1], off
; %bb.12:
	s_or_b32 exec_lo, exec_lo, s4
.LBB0_13:
	s_or_b32 exec_lo, exec_lo, s1
	s_waitcnt vmcnt(11)
	v_add_f64 v[134:135], v[130:131], -v[78:79]
	s_mov_b32 s16, 0xf8bb580b
	s_mov_b32 s17, 0xbfe14ced
	v_add_f64 v[136:137], v[76:77], v[128:129]
	s_waitcnt vmcnt(1)
	v_add_f64 v[138:139], v[118:119], -v[86:87]
	s_mov_b32 s4, 0x8764f0ba
	s_mov_b32 s30, 0x8eee2c13
	;; [unrolled: 1-line block ×10, first 2 shown]
	v_add_f64 v[144:145], v[84:85], v[116:117]
	v_add_f64 v[148:149], v[122:123], -v[90:91]
	s_mov_b32 s10, 0xd9c712b6
	s_mov_b32 s12, 0x7f775887
	;; [unrolled: 1-line block ×5, first 2 shown]
	v_mul_f64 v[140:141], v[134:135], s[16:17]
	v_mul_f64 v[142:143], v[134:135], s[30:31]
	;; [unrolled: 1-line block ×6, first 2 shown]
	s_mov_b32 s15, 0xbfeeb42a
	s_mov_b32 s35, 0x3fd207e7
	;; [unrolled: 1-line block ×7, first 2 shown]
	v_add_f64 v[132:133], v[88:89], v[120:121]
	v_mul_f64 v[162:163], v[138:139], s[20:21]
	v_mul_f64 v[168:169], v[138:139], s[34:35]
	;; [unrolled: 1-line block ×5, first 2 shown]
	s_mov_b32 s6, 0x640f44db
	s_mov_b32 s7, 0xbfc2375f
	v_add_f64 v[150:151], v[114:115], -v[98:99]
	v_fma_f64 v[164:165], v[136:137], s[4:5], v[140:141]
	v_fma_f64 v[140:141], v[136:137], s[4:5], -v[140:141]
	v_fma_f64 v[166:167], v[136:137], s[10:11], v[142:143]
	v_fma_f64 v[182:183], v[136:137], s[12:13], v[152:153]
	v_fma_f64 v[152:153], v[136:137], s[12:13], -v[152:153]
	v_fma_f64 v[186:187], v[144:145], s[10:11], v[158:159]
	v_fma_f64 v[188:189], v[136:137], s[14:15], v[134:135]
	v_fma_f64 v[134:135], v[136:137], s[14:15], -v[134:135]
	v_fma_f64 v[142:143], v[136:137], s[10:11], -v[142:143]
	v_fma_f64 v[170:171], v[136:137], s[6:7], v[146:147]
	v_fma_f64 v[146:147], v[136:137], s[6:7], -v[146:147]
	v_fma_f64 v[136:137], v[144:145], s[10:11], -v[158:159]
	s_mov_b32 s27, 0x3fed1bb4
	s_mov_b32 s26, s30
	v_fma_f64 v[158:159], v[144:145], s[12:13], v[162:163]
	v_fma_f64 v[162:163], v[144:145], s[12:13], -v[162:163]
	v_fma_f64 v[192:193], v[144:145], s[14:15], v[168:169]
	v_fma_f64 v[168:169], v[144:145], s[14:15], -v[168:169]
	;; [unrolled: 2-line block ×4, first 2 shown]
	v_add_f64 v[164:165], v[80:81], v[164:165]
	v_add_f64 v[140:141], v[80:81], v[140:141]
	;; [unrolled: 1-line block ×5, first 2 shown]
	v_fma_f64 v[152:153], v[132:133], s[6:7], v[174:175]
	v_add_f64 v[188:189], v[80:81], v[188:189]
	v_add_f64 v[134:135], v[80:81], v[134:135]
	v_add_f64 v[142:143], v[80:81], v[142:143]
	v_add_f64 v[170:171], v[80:81], v[170:171]
	v_add_f64 v[146:147], v[80:81], v[146:147]
	v_add_f64 v[80:81], v[128:129], v[80:81]
	v_add_f64 v[154:155], v[96:97], v[112:113]
	v_mul_f64 v[180:181], v[148:149], s[34:35]
	v_mul_f64 v[184:185], v[148:149], s[26:27]
	;; [unrolled: 1-line block ×3, first 2 shown]
	v_fma_f64 v[174:175], v[132:133], s[6:7], -v[174:175]
	v_add_f64 v[160:161], v[126:127], -v[42:43]
	v_mul_f64 v[148:149], v[148:149], s[20:21]
	v_add_f64 v[156:157], v[110:111], -v[106:107]
	v_cmp_gt_u32_e64 s0, 15, v176
	v_add_f64 v[164:165], v[186:187], v[164:165]
	v_add_f64 v[136:137], v[136:137], v[140:141]
	;; [unrolled: 1-line block ×3, first 2 shown]
	v_mul_f64 v[158:159], v[150:151], s[20:21]
	v_mul_f64 v[186:187], v[150:151], s[16:17]
	v_add_f64 v[182:183], v[194:195], v[182:183]
	v_add_f64 v[144:145], v[172:173], v[144:145]
	;; [unrolled: 1-line block ×7, first 2 shown]
	v_mul_f64 v[172:173], v[150:151], s[22:23]
	v_fma_f64 v[198:199], v[132:133], s[14:15], v[180:181]
	v_fma_f64 v[166:167], v[132:133], s[14:15], -v[180:181]
	v_fma_f64 v[162:163], v[132:133], s[10:11], v[184:185]
	v_mul_f64 v[180:181], v[150:151], s[28:29]
	v_fma_f64 v[184:185], v[132:133], s[10:11], -v[184:185]
	v_fma_f64 v[168:169], v[132:133], s[4:5], v[190:191]
	v_fma_f64 v[190:191], v[132:133], s[4:5], -v[190:191]
	v_fma_f64 v[192:193], v[132:133], s[12:13], v[148:149]
	v_fma_f64 v[132:133], v[132:133], s[12:13], -v[148:149]
	v_add_f64 v[138:139], v[152:153], v[164:165]
	v_add_f64 v[152:153], v[124:125], v[60:61]
	;; [unrolled: 1-line block ×3, first 2 shown]
	v_fma_f64 v[164:165], v[154:155], s[12:13], v[158:159]
	v_fma_f64 v[158:159], v[154:155], s[12:13], -v[158:159]
	v_add_f64 v[148:149], v[196:197], v[188:189]
	v_mul_f64 v[188:189], v[160:161], s[16:17]
	v_mul_f64 v[194:195], v[160:161], s[30:31]
	;; [unrolled: 1-line block ×5, first 2 shown]
	v_add_f64 v[80:81], v[120:121], v[80:81]
	v_add_f64 v[140:141], v[198:199], v[140:141]
	;; [unrolled: 1-line block ×4, first 2 shown]
	v_fma_f64 v[174:175], v[154:155], s[6:7], -v[180:181]
	v_add_f64 v[146:147], v[184:185], v[146:147]
	v_add_f64 v[168:169], v[168:169], v[182:183]
	v_fma_f64 v[182:183], v[154:155], s[4:5], v[186:187]
	v_add_f64 v[144:145], v[190:191], v[144:145]
	v_add_f64 v[184:185], v[40:41], v[124:125]
	s_waitcnt vmcnt(0)
	v_add_f64 v[190:191], v[102:103], -v[50:51]
	v_add_f64 v[152:153], v[100:101], v[152:153]
	v_add_f64 v[198:199], v[48:49], v[100:101]
	;; [unrolled: 1-line block ×3, first 2 shown]
	v_mul_f64 v[164:165], v[160:161], s[18:19]
	v_add_f64 v[136:137], v[158:159], v[136:137]
	v_mul_f64 v[158:159], v[160:161], s[20:21]
	v_mul_f64 v[160:161], v[160:161], s[22:23]
	v_fma_f64 v[170:171], v[154:155], s[6:7], v[180:181]
	v_fma_f64 v[186:187], v[154:155], s[4:5], -v[186:187]
	v_add_f64 v[132:133], v[132:133], v[134:135]
	v_add_f64 v[80:81], v[112:113], v[80:81]
	v_fma_f64 v[134:135], v[154:155], s[14:15], v[172:173]
	v_add_f64 v[148:149], v[192:193], v[148:149]
	v_fma_f64 v[172:173], v[154:155], s[14:15], -v[172:173]
	v_add_f64 v[166:167], v[104:105], v[108:109]
	v_add_f64 v[142:143], v[174:175], v[142:143]
	v_mul_f64 v[180:181], v[156:157], s[22:23]
	v_mul_f64 v[192:193], v[156:157], s[24:25]
	v_add_f64 v[162:163], v[182:183], v[162:163]
	v_mul_f64 v[156:157], v[156:157], s[18:19]
	v_fma_f64 v[174:175], v[184:185], s[4:5], v[188:189]
	v_fma_f64 v[188:189], v[184:185], s[4:5], -v[188:189]
	v_add_f64 v[152:153], v[92:93], v[152:153]
	v_mul_f64 v[200:201], v[190:191], s[30:31]
	v_fma_f64 v[202:203], v[184:185], s[10:11], v[194:195]
	v_fma_f64 v[194:195], v[184:185], s[10:11], -v[194:195]
	v_mul_f64 v[204:205], v[190:191], s[20:21]
	v_fma_f64 v[208:209], v[184:185], s[6:7], v[164:165]
	v_mul_f64 v[210:211], v[190:191], s[34:35]
	v_fma_f64 v[164:165], v[184:185], s[6:7], -v[164:165]
	v_fma_f64 v[182:183], v[184:185], s[12:13], v[158:159]
	v_fma_f64 v[158:159], v[184:185], s[12:13], -v[158:159]
	v_mul_f64 v[212:213], v[190:191], s[28:29]
	v_fma_f64 v[214:215], v[184:185], s[14:15], v[160:161]
	v_fma_f64 v[160:161], v[184:185], s[14:15], -v[160:161]
	v_mul_f64 v[184:185], v[190:191], s[24:25]
	v_add_f64 v[190:191], v[94:95], -v[66:67]
	v_add_f64 v[80:81], v[108:109], v[80:81]
	v_add_f64 v[140:141], v[170:171], v[140:141]
	v_fma_f64 v[170:171], v[154:155], s[10:11], v[150:151]
	v_add_f64 v[146:147], v[186:187], v[146:147]
	v_add_f64 v[134:135], v[134:135], v[168:169]
	;; [unrolled: 1-line block ×5, first 2 shown]
	v_fma_f64 v[216:217], v[198:199], s[10:11], v[200:201]
	v_fma_f64 v[200:201], v[198:199], s[10:11], -v[200:201]
	v_add_f64 v[202:203], v[60:61], v[202:203]
	v_add_f64 v[194:195], v[60:61], v[194:195]
	v_fma_f64 v[218:219], v[198:199], s[12:13], v[204:205]
	v_fma_f64 v[204:205], v[198:199], s[12:13], -v[204:205]
	v_add_f64 v[208:209], v[60:61], v[208:209]
	v_fma_f64 v[220:221], v[198:199], s[14:15], v[210:211]
	v_add_f64 v[164:165], v[60:61], v[164:165]
	v_fma_f64 v[210:211], v[198:199], s[14:15], -v[210:211]
	v_add_f64 v[182:183], v[60:61], v[182:183]
	v_add_f64 v[158:159], v[60:61], v[158:159]
	v_fma_f64 v[222:223], v[198:199], s[6:7], v[212:213]
	v_fma_f64 v[212:213], v[198:199], s[6:7], -v[212:213]
	v_add_f64 v[214:215], v[60:61], v[214:215]
	v_add_f64 v[60:61], v[60:61], v[160:161]
	v_fma_f64 v[160:161], v[198:199], s[4:5], v[184:185]
	v_fma_f64 v[184:185], v[198:199], s[4:5], -v[184:185]
	v_add_f64 v[198:199], v[64:65], v[92:93]
	v_mul_f64 v[224:225], v[190:191], s[18:19]
	v_add_f64 v[80:81], v[104:105], v[80:81]
	v_add_f64 v[152:153], v[52:53], v[152:153]
	v_mul_f64 v[186:187], v[190:191], s[34:35]
	v_mul_f64 v[228:229], v[190:191], s[26:27]
	;; [unrolled: 1-line block ×4, first 2 shown]
	v_add_f64 v[174:175], v[216:217], v[174:175]
	v_add_f64 v[188:189], v[200:201], v[188:189]
	v_add_f64 v[190:191], v[70:71], -v[74:75]
	v_add_f64 v[194:195], v[204:205], v[194:195]
	v_fma_f64 v[150:151], v[154:155], s[10:11], -v[150:151]
	v_add_f64 v[200:201], v[218:219], v[202:203]
	v_add_f64 v[202:203], v[220:221], v[208:209]
	;; [unrolled: 1-line block ×9, first 2 shown]
	v_fma_f64 v[154:155], v[166:167], s[14:15], v[180:181]
	v_fma_f64 v[184:185], v[198:199], s[6:7], v[224:225]
	v_fma_f64 v[204:205], v[198:199], s[6:7], -v[224:225]
	v_add_f64 v[152:153], v[56:57], v[152:153]
	v_add_f64 v[80:81], v[96:97], v[80:81]
	v_fma_f64 v[208:209], v[198:199], s[14:15], v[186:187]
	v_fma_f64 v[186:187], v[198:199], s[14:15], -v[186:187]
	v_fma_f64 v[210:211], v[198:199], s[10:11], v[228:229]
	v_fma_f64 v[212:213], v[198:199], s[10:11], -v[228:229]
	;; [unrolled: 2-line block ×4, first 2 shown]
	v_add_f64 v[198:199], v[72:73], v[68:69]
	v_mul_f64 v[220:221], v[190:191], s[20:21]
	v_mul_f64 v[224:225], v[190:191], s[28:29]
	;; [unrolled: 1-line block ×5, first 2 shown]
	v_add_f64 v[132:133], v[150:151], v[132:133]
	v_fma_f64 v[226:227], v[166:167], s[4:5], v[192:193]
	v_fma_f64 v[192:193], v[166:167], s[4:5], -v[192:193]
	v_fma_f64 v[222:223], v[166:167], s[12:13], v[196:197]
	v_add_f64 v[174:175], v[184:185], v[174:175]
	v_add_f64 v[184:185], v[204:205], v[188:189]
	v_add_f64 v[188:189], v[54:55], -v[58:59]
	v_add_f64 v[152:153], v[72:73], v[152:153]
	v_add_f64 v[80:81], v[88:89], v[80:81]
	;; [unrolled: 1-line block ×10, first 2 shown]
	v_fma_f64 v[168:169], v[198:199], s[12:13], v[220:221]
	v_fma_f64 v[200:201], v[198:199], s[12:13], -v[220:221]
	v_fma_f64 v[202:203], v[198:199], s[6:7], v[224:225]
	v_fma_f64 v[204:205], v[198:199], s[6:7], -v[224:225]
	;; [unrolled: 2-line block ×5, first 2 shown]
	v_add_f64 v[198:199], v[56:57], v[52:53]
	v_mul_f64 v[216:217], v[188:189], s[22:23]
	v_add_f64 v[150:151], v[64:65], v[152:153]
	v_mul_f64 v[152:153], v[188:189], s[24:25]
	v_mul_f64 v[220:221], v[188:189], s[20:21]
	;; [unrolled: 1-line block ×4, first 2 shown]
	v_fma_f64 v[218:219], v[166:167], s[10:11], v[206:207]
	v_fma_f64 v[206:207], v[166:167], s[10:11], -v[206:207]
	v_fma_f64 v[228:229], v[166:167], s[6:7], v[156:157]
	v_fma_f64 v[156:157], v[166:167], s[6:7], -v[156:157]
	v_add_f64 v[80:81], v[84:85], v[80:81]
	v_fma_f64 v[196:197], v[166:167], s[12:13], -v[196:197]
	v_fma_f64 v[180:181], v[166:167], s[14:15], -v[180:181]
	v_add_f64 v[166:167], v[168:169], v[174:175]
	v_add_f64 v[168:169], v[200:201], v[184:185]
	;; [unrolled: 1-line block ×9, first 2 shown]
	v_fma_f64 v[170:171], v[198:199], s[14:15], v[216:217]
	v_fma_f64 v[182:183], v[198:199], s[14:15], -v[216:217]
	v_add_f64 v[150:151], v[48:49], v[150:151]
	v_fma_f64 v[190:191], v[198:199], s[4:5], v[152:153]
	v_fma_f64 v[194:195], v[198:199], s[12:13], v[220:221]
	;; [unrolled: 1-line block ×4, first 2 shown]
	v_add_f64 v[158:159], v[212:213], v[158:159]
	v_fma_f64 v[202:203], v[198:199], s[10:11], -v[224:225]
	v_fma_f64 v[188:189], v[198:199], s[6:7], -v[188:189]
	;; [unrolled: 1-line block ×4, first 2 shown]
	v_add_f64 v[138:139], v[154:155], v[138:139]
	v_add_f64 v[80:81], v[76:77], v[80:81]
	;; [unrolled: 1-line block ×22, first 2 shown]
	v_mad_u32_u24 v132, 0x58, v176, 0
	ds_write2_b64 v132, v[80:81], v[138:139] offset1:1
	ds_write2_b64 v132, v[140:141], v[154:155] offset0:2 offset1:3
	ds_write2_b64 v132, v[134:135], v[148:149] offset0:4 offset1:5
	v_add_nc_u32_e32 v133, 0x12e8, v132
	ds_write2_b64 v132, v[156:157], v[144:145] offset0:6 offset1:7
	ds_write2_b64 v132, v[146:147], v[142:143] offset0:8 offset1:9
	ds_write_b64 v132, v[136:137] offset:80
	v_add_nc_u32_e32 v134, 0x12f8, v132
	v_add_nc_u32_e32 v135, 0x1308, v132
	;; [unrolled: 1-line block ×4, first 2 shown]
	ds_write2_b64 v133, v[150:151], v[162:163] offset1:1
	ds_write2_b64 v134, v[168:169], v[170:171] offset1:1
	;; [unrolled: 1-line block ×5, first 2 shown]
	ds_write_b64 v132, v[166:167] offset:4920
	s_and_saveexec_b32 s1, s0
	s_cbranch_execz .LBB0_15
; %bb.14:
	v_add_f64 v[60:61], v[44:45], v[16:17]
	v_add_f64 v[138:139], v[0:1], v[44:45]
	;; [unrolled: 1-line block ×3, first 2 shown]
	v_add_f64 v[154:155], v[46:47], -v[2:3]
	s_mov_b32 s37, 0x3fe82f19
	s_mov_b32 s36, s20
	v_add_f64 v[142:143], v[8:9], v[32:33]
	v_add_f64 v[152:153], v[38:39], -v[6:7]
	v_add_f64 v[140:141], v[12:13], v[28:29]
	v_add_f64 v[150:151], v[34:35], -v[10:11]
	v_add_f64 v[80:81], v[20:21], v[24:25]
	v_add_f64 v[148:149], v[30:31], -v[14:15]
	v_add_f64 v[146:147], v[26:27], -v[22:23]
	v_add_f64 v[60:61], v[36:37], v[60:61]
	v_mul_f64 v[158:159], v[138:139], s[14:15]
	v_mul_f64 v[162:163], v[138:139], s[12:13]
	;; [unrolled: 1-line block ×21, first 2 shown]
	v_add_f64 v[60:61], v[32:33], v[60:61]
	v_fma_f64 v[200:201], v[154:155], s[34:35], v[158:159]
	v_fma_f64 v[158:159], v[154:155], s[22:23], v[158:159]
	;; [unrolled: 1-line block ×21, first 2 shown]
	v_add_f64 v[60:61], v[28:29], v[60:61]
	v_add_f64 v[152:153], v[16:17], v[200:201]
	v_add_f64 v[158:159], v[16:17], v[158:159]
	v_add_f64 v[200:201], v[16:17], v[202:203]
	v_add_f64 v[162:163], v[16:17], v[162:163]
	v_add_f64 v[202:203], v[16:17], v[204:205]
	v_add_f64 v[204:205], v[16:17], v[206:207]
	v_add_f64 v[166:167], v[16:17], v[166:167]
	v_add_f64 v[168:169], v[16:17], v[168:169]
	v_add_f64 v[206:207], v[16:17], v[208:209]
	v_add_f64 v[16:17], v[16:17], v[138:139]
	v_mul_f64 v[138:139], v[140:141], s[12:13]
	v_fma_f64 v[140:141], v[150:151], s[36:37], v[164:165]
	v_fma_f64 v[164:165], v[150:151], s[20:21], v[164:165]
	;; [unrolled: 1-line block ×9, first 2 shown]
	v_mul_f64 v[184:185], v[80:81], s[12:13]
	v_add_f64 v[60:61], v[24:25], v[60:61]
	v_add_f64 v[150:151], v[154:155], v[152:153]
	v_add_f64 v[152:153], v[170:171], v[158:159]
	v_add_f64 v[154:155], v[210:211], v[200:201]
	v_add_f64 v[158:159], v[182:183], v[162:163]
	v_add_f64 v[162:163], v[190:191], v[202:203]
	v_add_f64 v[170:171], v[194:195], v[204:205]
	v_add_f64 v[166:167], v[212:213], v[166:167]
	v_add_f64 v[168:169], v[214:215], v[168:169]
	v_add_f64 v[144:145], v[144:145], v[206:207]
	v_add_f64 v[16:17], v[216:217], v[16:17]
	v_mul_f64 v[192:193], v[80:81], s[4:5]
	v_mul_f64 v[80:81], v[80:81], s[14:15]
	v_fma_f64 v[182:183], v[148:149], s[30:31], v[160:161]
	v_fma_f64 v[160:161], v[148:149], s[26:27], v[160:161]
	;; [unrolled: 1-line block ×9, first 2 shown]
	v_add_f64 v[60:61], v[20:21], v[60:61]
	v_fma_f64 v[138:139], v[148:149], s[20:21], v[138:139]
	v_add_f64 v[140:141], v[140:141], v[150:151]
	v_add_f64 v[148:149], v[164:165], v[152:153]
	;; [unrolled: 1-line block ×10, first 2 shown]
	v_fma_f64 v[144:145], v[146:147], s[28:29], v[156:157]
	v_fma_f64 v[156:157], v[146:147], s[18:19], v[156:157]
	;; [unrolled: 1-line block ×10, first 2 shown]
	v_add_f64 v[60:61], v[12:13], v[60:61]
	v_add_f64 v[140:141], v[182:183], v[140:141]
	;; [unrolled: 1-line block ×22, first 2 shown]
	v_add_nc_u32_e32 v138, 0x25e0, v132
	v_add_nc_u32_e32 v139, 0x25f0, v132
	;; [unrolled: 1-line block ×5, first 2 shown]
	v_add_f64 v[60:61], v[4:5], v[60:61]
	v_add_f64 v[60:61], v[0:1], v[60:61]
	ds_write2_b64 v138, v[150:151], v[148:149] offset1:1
	ds_write2_b64 v139, v[146:147], v[142:143] offset1:1
	;; [unrolled: 1-line block ×5, first 2 shown]
	ds_write_b64 v132, v[16:17] offset:9760
.LBB0_15:
	s_or_b32 exec_lo, exec_lo, s1
	v_add_f64 v[16:17], v[130:131], v[82:83]
	v_add_f64 v[60:61], v[128:129], -v[76:77]
	v_add_f64 v[104:105], v[108:109], -v[104:105]
	v_add_f64 v[108:109], v[126:127], v[62:63]
	v_add_f64 v[76:77], v[78:79], v[130:131]
	v_add_f64 v[80:81], v[116:117], -v[84:85]
	v_add_f64 v[84:85], v[86:87], v[118:119]
	v_add_f64 v[40:41], v[124:125], -v[40:41]
	v_add_f64 v[124:125], v[50:51], v[102:103]
	v_add_f64 v[64:65], v[92:93], -v[64:65]
	v_add_f64 v[68:69], v[68:69], -v[72:73]
	v_add_f64 v[88:89], v[120:121], -v[88:89]
	v_add_f64 v[120:121], v[98:99], v[114:115]
	v_add_f64 v[48:49], v[100:101], -v[48:49]
	v_add_f64 v[100:101], v[66:67], v[94:95]
	v_add_f64 v[116:117], v[90:91], v[122:123]
	v_add_f64 v[96:97], v[112:113], -v[96:97]
	v_add_f64 v[126:127], v[42:43], v[126:127]
	v_add_f64 v[112:113], v[106:107], v[110:111]
	v_add_f64 v[52:53], v[52:53], -v[56:57]
	v_mad_i32_i24 v177, 0xffffffb0, v176, v132
	s_waitcnt lgkmcnt(0)
	v_add_f64 v[16:17], v[118:119], v[16:17]
	v_mul_f64 v[72:73], v[60:61], s[16:17]
	v_mul_f64 v[92:93], v[60:61], s[30:31]
	;; [unrolled: 1-line block ×5, first 2 shown]
	v_add_f64 v[102:103], v[102:103], v[108:109]
	v_mul_f64 v[130:131], v[80:81], s[30:31]
	v_mul_f64 v[138:139], v[80:81], s[20:21]
	v_mul_f64 v[140:141], v[80:81], s[34:35]
	v_mul_f64 v[142:143], v[80:81], s[28:29]
	v_mul_f64 v[80:81], v[80:81], s[24:25]
	v_mul_f64 v[144:145], v[88:89], s[18:19]
	v_mul_f64 v[146:147], v[88:89], s[34:35]
	v_mul_f64 v[148:149], v[88:89], s[26:27]
	v_mul_f64 v[150:151], v[88:89], s[16:17]
	v_mul_f64 v[88:89], v[88:89], s[20:21]
	v_mul_f64 v[108:109], v[40:41], s[16:17]
	v_mul_f64 v[166:167], v[40:41], s[18:19]
	v_mul_f64 v[168:169], v[40:41], s[20:21]
	v_mul_f64 v[152:153], v[96:97], s[20:21]
	v_mul_f64 v[154:155], v[96:97], s[28:29]
	v_add_f64 v[16:17], v[122:123], v[16:17]
	v_fma_f64 v[190:191], v[76:77], s[4:5], -v[72:73]
	v_fma_f64 v[72:73], v[76:77], s[4:5], v[72:73]
	v_fma_f64 v[192:193], v[76:77], s[10:11], -v[92:93]
	v_fma_f64 v[92:93], v[76:77], s[10:11], v[92:93]
	;; [unrolled: 2-line block ×4, first 2 shown]
	v_add_f64 v[94:95], v[94:95], v[102:103]
	v_mul_f64 v[122:123], v[40:41], s[30:31]
	v_mul_f64 v[40:41], v[40:41], s[22:23]
	v_fma_f64 v[198:199], v[84:85], s[12:13], -v[138:139]
	v_fma_f64 v[138:139], v[84:85], s[12:13], v[138:139]
	v_fma_f64 v[200:201], v[84:85], s[14:15], -v[140:141]
	v_fma_f64 v[140:141], v[84:85], s[14:15], v[140:141]
	;; [unrolled: 2-line block ×4, first 2 shown]
	v_mul_f64 v[156:157], v[96:97], s[16:17]
	v_mul_f64 v[158:159], v[96:97], s[22:23]
	v_add_f64 v[16:17], v[114:115], v[16:17]
	v_fma_f64 v[114:115], v[76:77], s[12:13], -v[128:129]
	v_fma_f64 v[128:129], v[76:77], s[12:13], v[128:129]
	v_fma_f64 v[76:77], v[84:85], s[10:11], -v[130:131]
	v_fma_f64 v[130:131], v[84:85], s[10:11], v[130:131]
	v_add_f64 v[190:191], v[82:83], v[190:191]
	v_add_f64 v[72:73], v[82:83], v[72:73]
	;; [unrolled: 1-line block ×9, first 2 shown]
	v_mul_f64 v[96:97], v[96:97], s[26:27]
	v_mul_f64 v[170:171], v[48:49], s[30:31]
	;; [unrolled: 1-line block ×6, first 2 shown]
	v_fma_f64 v[84:85], v[116:117], s[6:7], -v[144:145]
	v_fma_f64 v[206:207], v[116:117], s[14:15], -v[146:147]
	v_add_f64 v[16:17], v[110:111], v[16:17]
	v_fma_f64 v[208:209], v[116:117], s[10:11], -v[148:149]
	v_add_f64 v[128:129], v[82:83], v[128:129]
	v_fma_f64 v[210:211], v[116:117], s[4:5], -v[150:151]
	v_fma_f64 v[110:111], v[116:117], s[4:5], v[150:151]
	v_fma_f64 v[150:151], v[116:117], s[12:13], -v[88:89]
	v_fma_f64 v[88:89], v[116:117], s[12:13], v[88:89]
	;; [unrolled: 2-line block ×6, first 2 shown]
	v_add_f64 v[76:77], v[76:77], v[190:191]
	v_add_f64 v[72:73], v[130:131], v[72:73]
	;; [unrolled: 1-line block ×8, first 2 shown]
	v_fma_f64 v[106:107], v[126:127], s[6:7], -v[166:167]
	v_fma_f64 v[166:167], v[126:127], s[6:7], v[166:167]
	v_add_f64 v[128:129], v[142:143], v[128:129]
	v_add_f64 v[140:141], v[204:205], v[196:197]
	;; [unrolled: 1-line block ×3, first 2 shown]
	v_mul_f64 v[182:183], v[64:65], s[18:19]
	v_mul_f64 v[184:185], v[64:65], s[34:35]
	v_mul_f64 v[186:187], v[64:65], s[26:27]
	v_mul_f64 v[188:189], v[64:65], s[16:17]
	v_mul_f64 v[64:65], v[64:65], s[20:21]
	v_fma_f64 v[144:145], v[116:117], s[6:7], v[144:145]
	v_fma_f64 v[146:147], v[116:117], s[14:15], v[146:147]
	;; [unrolled: 1-line block ×3, first 2 shown]
	v_fma_f64 v[116:117], v[120:121], s[12:13], -v[152:153]
	v_fma_f64 v[214:215], v[120:121], s[4:5], -v[156:157]
	;; [unrolled: 1-line block ×3, first 2 shown]
	v_fma_f64 v[96:97], v[120:121], s[10:11], v[96:97]
	v_fma_f64 v[126:127], v[124:125], s[10:11], -v[170:171]
	v_fma_f64 v[170:171], v[124:125], s[10:11], v[170:171]
	v_fma_f64 v[228:229], v[124:125], s[12:13], -v[172:173]
	v_fma_f64 v[172:173], v[124:125], s[12:13], v[172:173]
	v_add_f64 v[16:17], v[98:99], v[16:17]
	v_add_f64 v[114:115], v[82:83], v[114:115]
	v_fma_f64 v[82:83], v[124:125], s[14:15], -v[174:175]
	v_fma_f64 v[98:99], v[124:125], s[14:15], v[174:175]
	v_fma_f64 v[174:175], v[124:125], s[6:7], -v[180:181]
	v_fma_f64 v[180:181], v[124:125], s[6:7], v[180:181]
	;; [unrolled: 2-line block ×3, first 2 shown]
	v_add_f64 v[108:109], v[62:63], v[108:109]
	v_add_f64 v[142:143], v[62:63], v[222:223]
	;; [unrolled: 1-line block ×18, first 2 shown]
	v_fma_f64 v[124:125], v[100:101], s[6:7], -v[182:183]
	v_fma_f64 v[182:183], v[100:101], s[6:7], v[182:183]
	v_fma_f64 v[232:233], v[100:101], s[14:15], -v[184:185]
	v_fma_f64 v[184:185], v[100:101], s[14:15], v[184:185]
	v_fma_f64 v[80:81], v[100:101], s[10:11], -v[186:187]
	v_add_f64 v[72:73], v[144:145], v[72:73]
	v_add_f64 v[118:119], v[148:149], v[118:119]
	;; [unrolled: 1-line block ×8, first 2 shown]
	v_mul_f64 v[140:141], v[68:69], s[28:29]
	v_add_f64 v[94:95], v[74:75], v[94:95]
	v_add_f64 v[116:117], v[214:215], v[130:131]
	v_fma_f64 v[130:131], v[100:101], s[12:13], -v[64:65]
	v_mul_f64 v[74:75], v[68:69], s[20:21]
	v_add_f64 v[16:17], v[86:87], v[16:17]
	v_add_f64 v[62:63], v[126:127], v[90:91]
	;; [unrolled: 1-line block ×8, first 2 shown]
	v_fma_f64 v[96:97], v[100:101], s[4:5], -v[188:189]
	v_fma_f64 v[128:129], v[100:101], s[4:5], v[188:189]
	v_mul_f64 v[144:145], v[68:69], s[16:17]
	v_mul_f64 v[148:149], v[68:69], s[22:23]
	;; [unrolled: 1-line block ×3, first 2 shown]
	v_add_f64 v[40:41], v[48:49], v[40:41]
	v_fma_f64 v[64:65], v[100:101], s[12:13], v[64:65]
	v_add_f64 v[114:115], v[202:203], v[114:115]
	v_mul_f64 v[160:161], v[104:105], s[22:23]
	v_mul_f64 v[162:163], v[104:105], s[24:25]
	;; [unrolled: 1-line block ×3, first 2 shown]
	v_fma_f64 v[152:153], v[120:121], s[12:13], v[152:153]
	v_fma_f64 v[212:213], v[120:121], s[6:7], -v[154:155]
	v_fma_f64 v[154:155], v[120:121], s[6:7], v[154:155]
	v_add_f64 v[16:17], v[78:79], v[16:17]
	v_fma_f64 v[78:79], v[100:101], s[10:11], v[186:187]
	v_fma_f64 v[156:157], v[120:121], s[4:5], v[156:157]
	v_add_f64 v[92:93], v[146:147], v[92:93]
	v_mul_f64 v[146:147], v[104:105], s[26:27]
	v_mul_f64 v[104:105], v[104:105], s[18:19]
	v_add_f64 v[66:67], v[66:67], v[94:95]
	v_add_f64 v[48:49], v[124:125], v[62:63]
	;; [unrolled: 1-line block ×9, first 2 shown]
	v_fma_f64 v[94:95], v[70:71], s[12:13], -v[74:75]
	v_fma_f64 v[74:75], v[70:71], s[12:13], v[74:75]
	v_fma_f64 v[96:97], v[70:71], s[6:7], -v[140:141]
	v_fma_f64 v[100:101], v[70:71], s[4:5], -v[144:145]
	v_fma_f64 v[106:107], v[70:71], s[4:5], v[144:145]
	v_fma_f64 v[108:109], v[70:71], s[14:15], -v[148:149]
	v_fma_f64 v[122:123], v[70:71], s[14:15], v[148:149]
	v_fma_f64 v[124:125], v[70:71], s[10:11], -v[68:69]
	v_add_f64 v[78:79], v[78:79], v[98:99]
	v_fma_f64 v[98:99], v[70:71], s[6:7], v[140:141]
	v_add_f64 v[54:55], v[58:59], v[54:55]
	v_mul_f64 v[58:59], v[52:53], s[22:23]
	v_mul_f64 v[130:131], v[52:53], s[24:25]
	;; [unrolled: 1-line block ×4, first 2 shown]
	v_add_f64 v[40:41], v[64:65], v[40:41]
	v_mul_f64 v[52:53], v[52:53], s[18:19]
	v_fma_f64 v[64:65], v[70:71], s[10:11], v[68:69]
	v_fma_f64 v[216:217], v[120:121], s[14:15], -v[158:159]
	v_add_f64 v[114:115], v[210:211], v[114:115]
	v_fma_f64 v[158:159], v[120:121], s[14:15], v[158:159]
	v_fma_f64 v[120:121], v[112:113], s[14:15], -v[160:161]
	v_fma_f64 v[102:103], v[112:113], s[14:15], v[160:161]
	v_fma_f64 v[160:161], v[112:113], s[4:5], -v[162:163]
	v_add_f64 v[72:73], v[152:153], v[72:73]
	v_add_f64 v[84:85], v[212:213], v[84:85]
	;; [unrolled: 1-line block ×4, first 2 shown]
	v_fma_f64 v[138:139], v[112:113], s[4:5], v[162:163]
	v_fma_f64 v[128:129], v[112:113], s[12:13], v[164:165]
	v_fma_f64 v[68:69], v[112:113], s[6:7], -v[104:105]
	v_fma_f64 v[70:71], v[112:113], s[6:7], v[104:105]
	v_add_f64 v[50:51], v[50:51], v[66:67]
	v_add_f64 v[48:49], v[94:95], v[48:49]
	;; [unrolled: 1-line block ×10, first 2 shown]
	v_fma_f64 v[88:89], v[54:55], s[14:15], -v[58:59]
	v_fma_f64 v[58:59], v[54:55], s[14:15], v[58:59]
	v_fma_f64 v[90:91], v[54:55], s[4:5], -v[130:131]
	v_fma_f64 v[94:95], v[54:55], s[4:5], v[130:131]
	;; [unrolled: 2-line block ×4, first 2 shown]
	v_fma_f64 v[106:107], v[54:55], s[6:7], -v[52:53]
	v_add_f64 v[40:41], v[64:65], v[40:41]
	v_fma_f64 v[52:53], v[54:55], s[6:7], v[52:53]
	v_fma_f64 v[142:143], v[112:113], s[12:13], -v[164:165]
	v_add_f64 v[114:115], v[216:217], v[114:115]
	v_fma_f64 v[140:141], v[112:113], s[10:11], -v[146:147]
	v_add_f64 v[110:111], v[158:159], v[110:111]
	v_fma_f64 v[146:147], v[112:113], s[10:11], v[146:147]
	v_add_nc_u32_e32 v188, 0x400, v177
	v_add_nc_u32_e32 v190, 0x1000, v177
	;; [unrolled: 1-line block ×6, first 2 shown]
	v_add_f64 v[108:109], v[120:121], v[76:77]
	v_add_f64 v[102:103], v[102:103], v[72:73]
	;; [unrolled: 1-line block ×18, first 2 shown]
	s_barrier
	buffer_gl0_inv
	ds_read2_b64 v[40:43], v177 offset1:55
	ds_read2_b64 v[52:55], v188 offset0:92 offset1:147
	ds_read2_b64 v[60:63], v190 offset0:38 offset1:93
	;; [unrolled: 1-line block ×11, first 2 shown]
	ds_read_b64 v[182:183], v177 offset:10560
	v_add_f64 v[116:117], v[142:143], v[116:117]
	v_add_f64 v[114:115], v[140:141], v[114:115]
	;; [unrolled: 1-line block ×3, first 2 shown]
	v_add_nc_u32_e32 v187, 0x6e, v176
	s_waitcnt lgkmcnt(0)
	s_barrier
	buffer_gl0_inv
	ds_write2_b64 v132, v[16:17], v[108:109] offset1:1
	ds_write2_b64 v132, v[112:113], v[116:117] offset0:2 offset1:3
	ds_write2_b64 v132, v[114:115], v[120:121] offset0:4 offset1:5
	;; [unrolled: 1-line block ×4, first 2 shown]
	ds_write_b64 v132, v[102:103] offset:80
	ds_write2_b64 v133, v[124:125], v[126:127] offset1:1
	ds_write2_b64 v134, v[130:131], v[96:97] offset1:1
	;; [unrolled: 1-line block ×5, first 2 shown]
	ds_write_b64 v132, v[128:129] offset:4920
	s_and_saveexec_b32 s26, s0
	s_cbranch_execz .LBB0_17
; %bb.16:
	v_add_f64 v[16:17], v[46:47], v[18:19]
	v_add_f64 v[0:1], v[44:45], -v[0:1]
	s_mov_b32 s18, 0xf8bb580b
	s_mov_b32 s16, 0x43842ef
	s_mov_b32 s19, 0xbfe14ced
	s_mov_b32 s11, 0xbfed1bb4
	s_mov_b32 s10, 0x8eee2c13
	s_mov_b32 s17, 0xbfefac9e
	v_add_f64 v[46:47], v[2:3], v[46:47]
	v_add_f64 v[4:5], v[36:37], -v[4:5]
	v_add_f64 v[36:37], v[6:7], v[38:39]
	v_add_f64 v[20:21], v[24:25], -v[20:21]
	s_mov_b32 s0, 0x8764f0ba
	s_mov_b32 s4, 0xd9c712b6
	;; [unrolled: 1-line block ×9, first 2 shown]
	v_add_f64 v[8:9], v[32:33], -v[8:9]
	v_add_f64 v[16:17], v[38:39], v[16:17]
	v_mul_f64 v[24:25], v[0:1], s[18:19]
	v_mul_f64 v[38:39], v[0:1], s[10:11]
	;; [unrolled: 1-line block ×5, first 2 shown]
	v_add_f64 v[32:33], v[10:11], v[34:35]
	v_add_f64 v[12:13], v[28:29], -v[12:13]
	v_add_f64 v[28:29], v[22:23], v[26:27]
	v_mul_f64 v[94:95], v[4:5], s[10:11]
	v_mul_f64 v[96:97], v[4:5], s[20:21]
	;; [unrolled: 1-line block ×5, first 2 shown]
	s_mov_b32 s11, 0x3fed1bb4
	v_mul_f64 v[116:117], v[20:21], s[22:23]
	v_mul_f64 v[118:119], v[20:21], s[30:31]
	;; [unrolled: 1-line block ×5, first 2 shown]
	v_add_f64 v[16:17], v[34:35], v[16:17]
	v_fma_f64 v[124:125], v[46:47], s[0:1], -v[24:25]
	v_fma_f64 v[126:127], v[46:47], s[4:5], -v[38:39]
	v_fma_f64 v[38:39], v[46:47], s[4:5], v[38:39]
	v_fma_f64 v[128:129], v[46:47], s[6:7], -v[44:45]
	v_fma_f64 v[130:131], v[46:47], s[12:13], -v[92:93]
	;; [unrolled: 1-line block ×3, first 2 shown]
	v_fma_f64 v[92:93], v[46:47], s[12:13], v[92:93]
	v_fma_f64 v[0:1], v[46:47], s[14:15], v[0:1]
	;; [unrolled: 1-line block ×4, first 2 shown]
	v_add_f64 v[34:35], v[14:15], v[30:31]
	v_mul_f64 v[104:105], v[8:9], s[18:19]
	v_mul_f64 v[106:107], v[8:9], s[20:21]
	v_fma_f64 v[46:47], v[36:37], s[4:5], v[94:95]
	v_fma_f64 v[134:135], v[36:37], s[14:15], -v[98:99]
	v_fma_f64 v[98:99], v[36:37], s[14:15], v[98:99]
	v_fma_f64 v[136:137], v[36:37], s[6:7], -v[100:101]
	;; [unrolled: 2-line block ×3, first 2 shown]
	v_fma_f64 v[4:5], v[36:37], s[0:1], v[4:5]
	v_mul_f64 v[108:109], v[12:13], s[20:21]
	v_add_f64 v[16:17], v[30:31], v[16:17]
	v_mul_f64 v[30:31], v[8:9], s[24:25]
	v_mul_f64 v[8:9], v[8:9], s[10:11]
	v_add_f64 v[38:39], v[18:19], v[38:39]
	v_mul_f64 v[110:111], v[12:13], s[28:29]
	v_mul_f64 v[112:113], v[12:13], s[18:19]
	;; [unrolled: 1-line block ×3, first 2 shown]
	v_add_f64 v[92:93], v[18:19], v[92:93]
	v_add_f64 v[0:1], v[18:19], v[0:1]
	v_add_f64 v[44:45], v[18:19], v[44:45]
	v_mul_f64 v[12:13], v[12:13], s[10:11]
	v_fma_f64 v[140:141], v[32:33], s[12:13], -v[106:107]
	v_fma_f64 v[106:107], v[32:33], s[12:13], v[106:107]
	v_add_f64 v[16:17], v[26:27], v[16:17]
	v_fma_f64 v[26:27], v[36:37], s[4:5], -v[94:95]
	v_fma_f64 v[94:95], v[36:37], s[12:13], -v[96:97]
	v_fma_f64 v[96:97], v[36:37], s[12:13], v[96:97]
	v_add_f64 v[36:37], v[18:19], v[124:125]
	v_add_f64 v[124:125], v[18:19], v[126:127]
	;; [unrolled: 1-line block ×6, first 2 shown]
	v_fma_f64 v[24:25], v[32:33], s[6:7], v[102:103]
	v_fma_f64 v[132:133], v[32:33], s[0:1], -v[104:105]
	v_fma_f64 v[104:105], v[32:33], s[0:1], v[104:105]
	v_fma_f64 v[142:143], v[32:33], s[4:5], -v[8:9]
	v_fma_f64 v[8:9], v[32:33], s[4:5], v[8:9]
	v_add_f64 v[92:93], v[100:101], v[92:93]
	v_add_f64 v[0:1], v[4:5], v[0:1]
	;; [unrolled: 1-line block ×3, first 2 shown]
	v_fma_f64 v[100:101], v[34:35], s[0:1], -v[112:113]
	v_fma_f64 v[44:45], v[34:35], s[12:13], v[108:109]
	v_fma_f64 v[98:99], v[34:35], s[6:7], v[110:111]
	v_add_f64 v[16:17], v[22:23], v[16:17]
	v_fma_f64 v[22:23], v[32:33], s[6:7], -v[102:103]
	v_fma_f64 v[102:103], v[32:33], s[14:15], -v[30:31]
	v_fma_f64 v[30:31], v[32:33], s[14:15], v[30:31]
	v_add_f64 v[26:27], v[26:27], v[36:37]
	v_add_f64 v[32:33], v[94:95], v[124:125]
	;; [unrolled: 1-line block ×10, first 2 shown]
	v_mul_f64 v[18:19], v[20:21], s[10:11]
	v_fma_f64 v[20:21], v[34:35], s[12:13], -v[108:109]
	v_fma_f64 v[46:47], v[34:35], s[6:7], -v[110:111]
	v_add_f64 v[22:23], v[22:23], v[26:27]
	v_add_f64 v[26:27], v[102:103], v[32:33]
	;; [unrolled: 1-line block ×3, first 2 shown]
	v_fma_f64 v[108:109], v[34:35], s[0:1], v[112:113]
	v_fma_f64 v[110:111], v[34:35], s[14:15], -v[114:115]
	v_fma_f64 v[112:113], v[34:35], s[14:15], v[114:115]
	v_fma_f64 v[114:115], v[34:35], s[4:5], -v[12:13]
	v_fma_f64 v[12:13], v[34:35], s[4:5], v[12:13]
	v_add_f64 v[30:31], v[30:31], v[36:37]
	v_add_f64 v[34:35], v[132:133], v[94:95]
	;; [unrolled: 1-line block ×4, first 2 shown]
	v_fma_f64 v[92:93], v[28:29], s[0:1], v[118:119]
	v_fma_f64 v[94:95], v[28:29], s[12:13], -v[120:121]
	v_fma_f64 v[96:97], v[28:29], s[12:13], v[120:121]
	v_fma_f64 v[102:103], v[28:29], s[6:7], -v[122:123]
	v_fma_f64 v[104:105], v[28:29], s[6:7], v[122:123]
	v_add_f64 v[8:9], v[10:11], v[14:15]
	v_add_f64 v[10:11], v[24:25], v[16:17]
	v_fma_f64 v[14:15], v[28:29], s[14:15], -v[116:117]
	v_fma_f64 v[16:17], v[28:29], s[14:15], v[116:117]
	v_fma_f64 v[24:25], v[28:29], s[0:1], -v[118:119]
	v_fma_f64 v[106:107], v[28:29], s[4:5], -v[18:19]
	v_fma_f64 v[18:19], v[28:29], s[4:5], v[18:19]
	v_add_f64 v[20:21], v[20:21], v[22:23]
	v_add_f64 v[22:23], v[46:47], v[26:27]
	;; [unrolled: 1-line block ×22, first 2 shown]
	v_mad_u32_u24 v8, 0x58, v187, 0
	ds_write2_b64 v8, v[12:13], v[20:21] offset0:2 offset1:3
	ds_write2_b64 v8, v[22:23], v[24:25] offset0:4 offset1:5
	;; [unrolled: 1-line block ×4, first 2 shown]
	ds_write2_b64 v8, v[2:3], v[10:11] offset1:1
	ds_write_b64 v8, v[6:7] offset:80
.LBB0_17:
	s_or_b32 exec_lo, exec_lo, s26
	v_add_nc_u32_e32 v186, 0xdc, v176
	v_mov_b32_e32 v0, 0xba2f
	v_and_b32_e32 v1, 0xff, v176
	v_add_nc_u32_e32 v194, 55, v176
	v_and_b32_e32 v197, 0xff, v187
	v_add_nc_u32_e32 v195, 0xa5, v176
	v_mul_u32_u24_sdwa v0, v186, v0 dst_sel:DWORD dst_unused:UNUSED_PAD src0_sel:WORD_0 src1_sel:DWORD
	v_mul_lo_u16 v1, 0x75, v1
	v_and_b32_e32 v4, 0xff, v194
	v_mul_lo_u16 v3, 0x75, v197
	v_mov_b32_e32 v2, 6
	v_lshrrev_b32_e32 v198, 19, v0
	v_lshrrev_b16 v0, 8, v1
	v_and_b32_e32 v196, 0xff, v195
	s_waitcnt lgkmcnt(0)
	s_barrier
	v_mul_lo_u16 v1, v198, 11
	v_sub_nc_u16 v5, v176, v0
	v_mul_lo_u16 v7, 0x75, v196
	buffer_gl0_inv
	v_mov_b32_e32 v215, 3
	v_sub_nc_u16 v199, v186, v1
	v_lshrrev_b16 v1, 8, v3
	v_mul_lo_u16 v3, 0x75, v4
	v_lshrrev_b16 v4, 1, v5
	v_mul_u32_u24_e32 v198, 0x1b8, v198
	v_lshlrev_b32_sdwa v5, v2, v199 dst_sel:DWORD dst_unused:UNUSED_PAD src0_sel:DWORD src1_sel:WORD_0
	v_sub_nc_u16 v6, v187, v1
	v_lshrrev_b16 v3, 8, v3
	v_and_b32_e32 v4, 0x7f, v4
	s_clause 0x1
	global_load_dwordx4 v[152:155], v5, s[8:9] offset:16
	global_load_dwordx4 v[156:159], v5, s[8:9]
	v_lshrrev_b16 v6, 1, v6
	v_sub_nc_u16 v8, v194, v3
	v_add_nc_u16 v0, v4, v0
	s_clause 0x1
	global_load_dwordx4 v[168:171], v5, s[8:9] offset:32
	global_load_dwordx4 v[164:167], v5, s[8:9] offset:48
	v_lshrrev_b16 v4, 8, v7
	v_and_b32_e32 v5, 0x7f, v6
	v_lshrrev_b16 v6, 1, v8
	v_lshrrev_b16 v201, 3, v0
	v_lshlrev_b32_sdwa v199, v215, v199 dst_sel:DWORD dst_unused:UNUSED_PAD src0_sel:DWORD src1_sel:WORD_0
	v_sub_nc_u16 v0, v195, v4
	v_add_nc_u16 v1, v5, v1
	v_and_b32_e32 v5, 0x7f, v6
	v_mul_lo_u16 v6, v201, 11
	v_mul_lo_u16 v245, 0x95, v197
	v_lshrrev_b16 v0, 1, v0
	v_lshrrev_b16 v200, 3, v1
	v_add_nc_u16 v1, v5, v3
	v_sub_nc_u16 v202, v176, v6
	v_add3_u32 v247, 0, v198, v199
	v_and_b32_e32 v0, 0x7f, v0
	v_mul_lo_u16 v3, v200, 11
	v_lshrrev_b16 v203, 3, v1
	v_lshlrev_b32_sdwa v1, v2, v202 dst_sel:DWORD dst_unused:UNUSED_PAD src0_sel:DWORD src1_sel:BYTE_0
	s_clause 0x1
	global_load_dwordx4 v[148:151], v1, s[8:9]
	global_load_dwordx4 v[132:135], v1, s[8:9] offset:16
	v_add_nc_u16 v0, v0, v4
	s_clause 0x1
	global_load_dwordx4 v[160:163], v1, s[8:9] offset:32
	global_load_dwordx4 v[140:143], v1, s[8:9] offset:48
	v_sub_nc_u16 v204, v187, v3
	v_mul_lo_u16 v3, v203, 11
	v_lshrrev_b16 v205, 3, v0
	v_mov_b32_e32 v208, 0x29e5
	v_mov_b32_e32 v214, 0x1b8
	v_lshlrev_b32_sdwa v0, v2, v204 dst_sel:DWORD dst_unused:UNUSED_PAD src0_sel:DWORD src1_sel:BYTE_0
	v_sub_nc_u16 v206, v194, v3
	v_mul_lo_u16 v1, v205, 11
	s_clause 0x1
	global_load_dwordx4 v[136:139], v0, s[8:9]
	global_load_dwordx4 v[120:123], v0, s[8:9] offset:16
	v_lshlrev_b32_sdwa v3, v2, v206 dst_sel:DWORD dst_unused:UNUSED_PAD src0_sel:DWORD src1_sel:BYTE_0
	global_load_dwordx4 v[108:111], v0, s[8:9] offset:32
	v_sub_nc_u16 v207, v195, v1
	s_clause 0x2
	global_load_dwordx4 v[96:99], v0, s[8:9] offset:48
	global_load_dwordx4 v[44:47], v3, s[8:9]
	global_load_dwordx4 v[36:39], v3, s[8:9] offset:16
	v_mul_u32_u24_sdwa v246, v186, v208 dst_sel:DWORD dst_unused:UNUSED_PAD src0_sel:WORD_0 src1_sel:DWORD
	v_mul_u32_u24_sdwa v199, v201, v214 dst_sel:DWORD dst_unused:UNUSED_PAD src0_sel:WORD_0 src1_sel:DWORD
	v_lshlrev_b32_sdwa v0, v2, v207 dst_sel:DWORD dst_unused:UNUSED_PAD src0_sel:DWORD src1_sel:BYTE_0
	s_clause 0x5
	global_load_dwordx4 v[32:35], v3, s[8:9] offset:32
	global_load_dwordx4 v[28:31], v3, s[8:9] offset:48
	global_load_dwordx4 v[24:27], v0, s[8:9]
	global_load_dwordx4 v[20:23], v0, s[8:9] offset:16
	global_load_dwordx4 v[16:19], v0, s[8:9] offset:32
	;; [unrolled: 1-line block ×3, first 2 shown]
	ds_read2_b64 v[4:7], v177 offset1:55
	ds_read2_b64 v[8:11], v188 offset0:92 offset1:147
	ds_read2_b64 v[116:119], v190 offset0:38 offset1:93
	;; [unrolled: 1-line block ×11, first 2 shown]
	ds_read_b64 v[184:185], v177 offset:10560
	v_lshlrev_b32_sdwa v201, v215, v202 dst_sel:DWORD dst_unused:UNUSED_PAD src0_sel:DWORD src1_sel:BYTE_0
	v_mul_u32_u24_sdwa v200, v200, v214 dst_sel:DWORD dst_unused:UNUSED_PAD src0_sel:WORD_0 src1_sel:DWORD
	v_lshlrev_b32_sdwa v202, v215, v204 dst_sel:DWORD dst_unused:UNUSED_PAD src0_sel:DWORD src1_sel:BYTE_0
	v_mul_u32_u24_sdwa v203, v203, v214 dst_sel:DWORD dst_unused:UNUSED_PAD src0_sel:WORD_0 src1_sel:DWORD
	v_mul_u32_u24_sdwa v204, v205, v214 dst_sel:DWORD dst_unused:UNUSED_PAD src0_sel:WORD_0 src1_sel:DWORD
	v_add3_u32 v248, 0, v199, v201
	v_lshlrev_b32_sdwa v199, v215, v206 dst_sel:DWORD dst_unused:UNUSED_PAD src0_sel:DWORD src1_sel:BYTE_0
	v_add3_u32 v249, 0, v200, v202
	v_lshlrev_b32_sdwa v200, v215, v207 dst_sel:DWORD dst_unused:UNUSED_PAD src0_sel:DWORD src1_sel:BYTE_0
	s_mov_b32 s12, 0x134454ff
	s_mov_b32 s13, 0xbfee6f0e
	v_add3_u32 v250, 0, v203, v199
	s_mov_b32 s15, 0x3fee6f0e
	v_add3_u32 v251, 0, v204, v200
	s_mov_b32 s14, s12
	s_mov_b32 s6, 0x4755a5e
	s_mov_b32 s7, 0xbfe2cf23
	s_mov_b32 s11, 0x3fe2cf23
	s_mov_b32 s10, s6
	s_mov_b32 s4, 0x372fe950
	s_mov_b32 s5, 0x3fd3c6ef
	s_waitcnt vmcnt(0) lgkmcnt(0)
	s_barrier
	buffer_gl0_inv
	v_lshlrev_b32_e32 v180, 2, v176
	v_mov_b32_e32 v181, 0
	v_mul_f64 v[208:209], v[172:173], v[154:155]
	v_mul_f64 v[197:198], v[126:127], v[158:159]
	;; [unrolled: 1-line block ×8, first 2 shown]
	v_fma_f64 v[88:89], v[88:89], v[152:153], v[208:209]
	v_fma_f64 v[82:83], v[82:83], v[156:157], v[197:198]
	v_fma_f64 v[126:127], v[126:127], v[156:157], -v[158:159]
	v_fma_f64 v[152:153], v[172:173], v[152:153], -v[154:155]
	v_fma_f64 v[78:79], v[78:79], v[168:169], v[210:211]
	v_fma_f64 v[154:155], v[182:183], v[164:165], v[212:213]
	v_fma_f64 v[156:157], v[184:185], v[164:165], -v[166:167]
	v_fma_f64 v[114:115], v[114:115], v[168:169], -v[170:171]
	v_mul_f64 v[158:159], v[10:11], v[150:151]
	v_mul_f64 v[166:167], v[174:175], v[162:163]
	;; [unrolled: 1-line block ×26, first 2 shown]
	v_fma_f64 v[90:91], v[90:91], v[160:161], v[166:167]
	v_mul_f64 v[166:167], v[102:103], v[22:23]
	v_mul_f64 v[22:23], v[74:75], v[22:23]
	v_fma_f64 v[160:161], v[174:175], v[160:161], -v[162:163]
	v_mul_f64 v[162:163], v[112:113], v[18:19]
	v_mul_f64 v[18:19], v[76:77], v[18:19]
	;; [unrolled: 1-line block ×4, first 2 shown]
	v_fma_f64 v[54:55], v[54:55], v[148:149], v[158:159]
	v_fma_f64 v[10:11], v[10:11], v[148:149], -v[150:151]
	v_add_f64 v[148:149], v[52:53], v[82:83]
	v_add_f64 v[150:151], v[88:89], v[78:79]
	v_fma_f64 v[60:61], v[60:61], v[132:133], v[164:165]
	v_fma_f64 v[116:117], v[116:117], v[132:133], -v[134:135]
	v_add_f64 v[132:133], v[126:127], -v[156:157]
	v_fma_f64 v[56:57], v[56:57], v[140:141], v[168:169]
	v_fma_f64 v[104:105], v[104:105], v[140:141], -v[142:143]
	v_add_f64 v[140:141], v[82:83], -v[88:89]
	v_add_f64 v[142:143], v[154:155], -v[78:79]
	v_fma_f64 v[86:87], v[86:87], v[136:137], v[170:171]
	v_fma_f64 v[136:137], v[146:147], v[136:137], -v[138:139]
	v_add_f64 v[138:139], v[82:83], v[154:155]
	v_add_f64 v[146:147], v[88:89], -v[82:83]
	v_fma_f64 v[72:73], v[72:73], v[120:121], v[172:173]
	v_fma_f64 v[100:101], v[100:101], v[120:121], -v[122:123]
	v_add_f64 v[120:121], v[78:79], -v[154:155]
	v_add_f64 v[122:123], v[8:9], v[126:127]
	v_fma_f64 v[70:71], v[70:71], v[108:109], v[182:183]
	v_fma_f64 v[108:109], v[130:131], v[108:109], -v[110:111]
	v_add_f64 v[110:111], v[152:153], v[114:115]
	v_fma_f64 v[64:65], v[64:65], v[96:97], v[184:185]
	v_fma_f64 v[92:93], v[92:93], v[96:97], -v[98:99]
	v_add_f64 v[96:97], v[126:127], -v[152:153]
	v_add_f64 v[158:159], v[126:127], v[156:157]
	v_add_f64 v[126:127], v[152:153], -v[126:127]
	v_add_f64 v[164:165], v[114:115], -v[156:157]
	v_fma_f64 v[84:85], v[84:85], v[44:45], v[197:198]
	v_fma_f64 v[44:45], v[144:145], v[44:45], -v[46:47]
	v_fma_f64 v[46:47], v[62:63], v[36:37], v[199:200]
	v_fma_f64 v[36:37], v[118:119], v[36:37], -v[38:39]
	;; [unrolled: 2-line block ×3, first 2 shown]
	v_fma_f64 v[34:35], v[58:59], v[28:29], v[203:204]
	v_add_f64 v[98:99], v[156:157], -v[114:115]
	v_fma_f64 v[28:29], v[106:107], v[28:29], -v[30:31]
	v_fma_f64 v[30:31], v[80:81], v[24:25], v[205:206]
	v_fma_f64 v[24:25], v[124:125], v[24:25], -v[26:27]
	v_fma_f64 v[26:27], v[74:75], v[20:21], v[166:167]
	;; [unrolled: 2-line block ×4, first 2 shown]
	v_add_f64 v[134:135], v[152:153], -v[114:115]
	v_add_f64 v[82:83], v[82:83], -v[154:155]
	;; [unrolled: 1-line block ×3, first 2 shown]
	v_fma_f64 v[12:13], v[94:95], v[12:13], -v[14:15]
	v_add_f64 v[14:15], v[148:149], v[88:89]
	v_fma_f64 v[58:59], v[150:151], -0.5, v[52:53]
	v_add_f64 v[62:63], v[140:141], v[142:143]
	v_fma_f64 v[52:53], v[138:139], -0.5, v[52:53]
	v_add_f64 v[66:67], v[146:147], v[120:121]
	v_add_f64 v[68:69], v[122:123], v[152:153]
	v_fma_f64 v[74:75], v[110:111], -0.5, v[8:9]
	v_fma_f64 v[8:9], v[158:159], -0.5, v[8:9]
	v_add_f64 v[80:81], v[126:127], v[164:165]
	v_add_f64 v[88:89], v[40:41], v[54:55]
	v_add_f64 v[94:95], v[60:61], v[90:91]
	v_add_f64 v[112:113], v[60:61], -v[54:55]
	v_add_f64 v[118:119], v[90:91], -v[56:57]
	v_add_f64 v[120:121], v[4:5], v[10:11]
	v_add_f64 v[126:127], v[10:11], -v[116:117]
	v_add_f64 v[128:129], v[104:105], -v[160:161]
	v_add_f64 v[142:143], v[48:49], v[86:87]
	v_add_f64 v[150:151], v[86:87], -v[72:73]
	v_add_f64 v[152:153], v[64:65], -v[70:71]
	v_add_f64 v[162:163], v[72:73], -v[86:87]
	v_add_f64 v[164:165], v[70:71], -v[64:65]
	v_add_f64 v[166:167], v[0:1], v[136:137]
	v_add_f64 v[110:111], v[54:55], v[56:57]
	;; [unrolled: 1-line block ×12, first 2 shown]
	v_add_f64 v[96:97], v[10:11], -v[104:105]
	v_add_f64 v[10:11], v[116:117], -v[10:11]
	;; [unrolled: 1-line block ×9, first 2 shown]
	v_add_f64 v[229:230], v[50:51], v[30:31]
	v_add_f64 v[231:232], v[26:27], v[22:23]
	v_add_f64 v[174:175], v[92:93], -v[108:109]
	v_add_f64 v[215:216], v[6:7], v[44:45]
	v_add_f64 v[217:218], v[36:37], v[32:33]
	;; [unrolled: 1-line block ×4, first 2 shown]
	v_add_f64 v[98:99], v[116:117], -v[160:161]
	v_add_f64 v[124:125], v[60:61], -v[90:91]
	;; [unrolled: 1-line block ×4, first 2 shown]
	v_add_f64 v[68:69], v[68:69], v[114:115]
	v_add_f64 v[114:115], v[2:3], v[24:25]
	;; [unrolled: 1-line block ×5, first 2 shown]
	v_add_f64 v[118:119], v[24:25], -v[20:21]
	v_add_f64 v[116:117], v[120:121], v[116:117]
	v_add_f64 v[120:121], v[12:13], -v[16:17]
	v_add_f64 v[126:127], v[126:127], v[128:129]
	v_add_f64 v[128:129], v[24:25], v[12:13]
	;; [unrolled: 1-line block ×3, first 2 shown]
	v_fma_f64 v[142:143], v[132:133], s[12:13], v[58:59]
	v_fma_f64 v[58:59], v[132:133], s[14:15], v[58:59]
	v_add_f64 v[150:151], v[150:151], v[152:153]
	v_fma_f64 v[152:153], v[134:135], s[14:15], v[52:53]
	v_fma_f64 v[52:53], v[134:135], s[12:13], v[52:53]
	v_add_f64 v[162:163], v[162:163], v[164:165]
	;; [unrolled: 3-line block ×3, first 2 shown]
	v_fma_f64 v[166:167], v[130:131], s[12:13], v[8:9]
	v_fma_f64 v[8:9], v[130:131], s[14:15], v[8:9]
	v_fma_f64 v[94:95], v[94:95], -0.5, v[40:41]
	v_fma_f64 v[40:41], v[110:111], -0.5, v[40:41]
	v_add_f64 v[201:202], v[44:45], -v[28:29]
	v_add_f64 v[205:206], v[84:85], -v[46:47]
	;; [unrolled: 1-line block ×4, first 2 shown]
	v_fma_f64 v[110:111], v[122:123], -0.5, v[4:5]
	v_fma_f64 v[122:123], v[144:145], -0.5, v[48:49]
	;; [unrolled: 1-line block ×3, first 2 shown]
	v_add_f64 v[46:47], v[197:198], v[46:47]
	v_fma_f64 v[158:159], v[199:200], -0.5, v[42:43]
	v_add_f64 v[54:55], v[54:55], -v[56:57]
	v_add_f64 v[86:87], v[86:87], -v[64:65]
	;; [unrolled: 1-line block ×3, first 2 shown]
	v_add_f64 v[14:15], v[14:15], v[78:79]
	v_fma_f64 v[4:5], v[138:139], -0.5, v[4:5]
	v_fma_f64 v[138:139], v[168:169], -0.5, v[0:1]
	;; [unrolled: 1-line block ×4, first 2 shown]
	v_add_f64 v[233:234], v[24:25], -v[12:13]
	v_add_f64 v[24:25], v[20:21], -v[24:25]
	v_add_f64 v[10:11], v[10:11], v[140:141]
	v_add_f64 v[140:141], v[16:17], -v[12:13]
	v_add_f64 v[237:238], v[30:31], -v[26:27]
	;; [unrolled: 1-line block ×3, first 2 shown]
	v_add_f64 v[102:103], v[102:103], v[106:107]
	v_add_f64 v[106:107], v[26:27], -v[22:23]
	v_add_f64 v[136:137], v[136:137], v[184:185]
	v_add_f64 v[26:27], v[229:230], v[26:27]
	v_fma_f64 v[184:185], v[231:232], -0.5, v[50:51]
	v_add_f64 v[84:85], v[84:85], -v[34:35]
	v_add_f64 v[221:222], v[44:45], -v[36:37]
	;; [unrolled: 1-line block ×4, first 2 shown]
	v_add_f64 v[144:145], v[172:173], v[174:175]
	v_add_f64 v[36:37], v[215:216], v[36:37]
	v_fma_f64 v[174:175], v[217:218], -0.5, v[6:7]
	v_fma_f64 v[6:7], v[225:226], -0.5, v[6:7]
	;; [unrolled: 1-line block ×3, first 2 shown]
	v_add_f64 v[30:31], v[30:31], -v[18:19]
	v_add_f64 v[20:21], v[114:115], v[20:21]
	v_fma_f64 v[88:89], v[88:89], -0.5, v[2:3]
	v_add_f64 v[114:115], v[118:119], v[120:121]
	v_fma_f64 v[2:3], v[128:129], -0.5, v[2:3]
	v_fma_f64 v[118:119], v[134:135], s[6:7], v[142:143]
	v_fma_f64 v[58:59], v[134:135], s[10:11], v[58:59]
	;; [unrolled: 1-line block ×8, first 2 shown]
	v_add_f64 v[60:61], v[60:61], v[90:91]
	v_fma_f64 v[82:83], v[96:97], s[12:13], v[94:95]
	v_fma_f64 v[90:91], v[96:97], s[14:15], v[94:95]
	;; [unrolled: 1-line block ×4, first 2 shown]
	v_add_f64 v[207:208], v[34:35], -v[38:39]
	v_add_f64 v[213:214], v[38:39], -v[34:35]
	v_add_f64 v[38:39], v[46:47], v[38:39]
	v_fma_f64 v[46:47], v[201:202], s[12:13], v[158:159]
	v_add_f64 v[14:15], v[14:15], v[154:155]
	v_fma_f64 v[132:133], v[54:55], s[14:15], v[110:111]
	v_fma_f64 v[110:111], v[54:55], s[12:13], v[110:111]
	;; [unrolled: 1-line block ×4, first 2 shown]
	v_add_f64 v[70:71], v[72:73], v[70:71]
	v_fma_f64 v[72:73], v[146:147], s[12:13], v[122:123]
	v_fma_f64 v[122:123], v[146:147], s[14:15], v[122:123]
	v_add_f64 v[100:101], v[100:101], v[108:109]
	v_fma_f64 v[108:109], v[86:87], s[14:15], v[138:139]
	v_fma_f64 v[142:143], v[170:171], s[12:13], v[0:1]
	;; [unrolled: 1-line block ×6, first 2 shown]
	v_add_f64 v[24:25], v[24:25], v[140:141]
	v_fma_f64 v[140:141], v[148:149], s[14:15], v[48:49]
	v_fma_f64 v[48:49], v[148:149], s[12:13], v[48:49]
	v_add_f64 v[239:240], v[18:19], -v[22:23]
	v_add_f64 v[78:79], v[22:23], -v[18:19]
	v_add_f64 v[22:23], v[26:27], v[22:23]
	v_fma_f64 v[26:27], v[233:234], s[12:13], v[184:185]
	v_add_f64 v[223:224], v[28:29], -v[32:33]
	v_add_f64 v[227:228], v[32:33], -v[28:29]
	v_add_f64 v[32:33], v[36:37], v[32:33]
	v_fma_f64 v[36:37], v[84:85], s[14:15], v[174:175]
	v_fma_f64 v[158:159], v[219:220], s[12:13], v[6:7]
	;; [unrolled: 1-line block ×5, first 2 shown]
	v_add_f64 v[116:117], v[116:117], v[160:161]
	v_fma_f64 v[160:161], v[233:234], s[14:15], v[184:185]
	v_add_f64 v[16:17], v[20:21], v[16:17]
	v_fma_f64 v[20:21], v[30:31], s[14:15], v[88:89]
	v_fma_f64 v[166:167], v[106:107], s[12:13], v[2:3]
	;; [unrolled: 1-line block ×11, first 2 shown]
	v_add_f64 v[8:9], v[60:61], v[56:57]
	v_fma_f64 v[56:57], v[98:99], s[6:7], v[82:83]
	v_fma_f64 v[60:61], v[98:99], s[10:11], v[90:91]
	;; [unrolled: 1-line block ×4, first 2 shown]
	v_add_f64 v[168:169], v[205:206], v[207:208]
	v_fma_f64 v[138:139], v[86:87], s[12:13], v[138:139]
	v_add_f64 v[34:35], v[38:39], v[34:35]
	v_fma_f64 v[38:39], v[203:204], s[6:7], v[46:47]
	v_add_f64 v[172:173], v[211:212], v[213:214]
	v_add_f64 v[68:69], v[68:69], v[156:157]
	v_fma_f64 v[156:157], v[84:85], s[12:13], v[174:175]
	v_fma_f64 v[88:89], v[30:31], s[12:13], v[88:89]
	;; [unrolled: 1-line block ×6, first 2 shown]
	v_add_f64 v[54:55], v[70:71], v[64:65]
	v_fma_f64 v[70:71], v[148:149], s[10:11], v[122:123]
	v_add_f64 v[92:93], v[100:101], v[92:93]
	v_fma_f64 v[100:101], v[170:171], s[10:11], v[108:109]
	v_fma_f64 v[108:109], v[86:87], s[10:11], v[142:143]
	;; [unrolled: 1-line block ×9, first 2 shown]
	v_add_f64 v[197:198], v[237:238], v[239:240]
	v_add_f64 v[18:19], v[22:23], v[18:19]
	v_fma_f64 v[22:23], v[235:236], s[6:7], v[26:27]
	v_add_f64 v[78:79], v[243:244], v[78:79]
	v_add_f64 v[110:111], v[32:33], v[28:29]
	v_fma_f64 v[28:29], v[219:220], s[10:11], v[36:37]
	v_fma_f64 v[36:37], v[84:85], s[10:11], v[158:159]
	;; [unrolled: 1-line block ×6, first 2 shown]
	v_add_f64 v[90:91], v[116:117], v[104:105]
	v_add_f64 v[116:117], v[16:17], v[12:13]
	v_fma_f64 v[12:13], v[106:107], s[10:11], v[20:21]
	v_fma_f64 v[20:21], v[30:31], s[10:11], v[166:167]
	v_fma_f64 v[2:3], v[30:31], s[6:7], v[2:3]
	v_fma_f64 v[30:31], v[102:103], s[4:5], v[56:57]
	v_fma_f64 v[56:57], v[102:103], s[4:5], v[60:61]
	v_fma_f64 v[60:61], v[112:113], s[4:5], v[82:83]
	v_fma_f64 v[40:41], v[112:113], s[4:5], v[40:41]
	v_add_f64 v[182:183], v[221:222], v[223:224]
	v_add_f64 v[44:45], v[44:45], v[227:228]
	v_fma_f64 v[104:105], v[170:171], s[6:7], v[138:139]
	v_fma_f64 v[38:39], v[168:169], s[4:5], v[38:39]
	;; [unrolled: 1-line block ×19, first 2 shown]
	ds_write2_b64 v248, v[8:9], v[30:31] offset1:11
	ds_write2_b64 v248, v[60:61], v[40:41] offset0:22 offset1:33
	ds_write_b64 v248, v[56:57] offset:352
	ds_write2_b64 v250, v[34:35], v[38:39] offset1:11
	ds_write2_b64 v250, v[70:71], v[42:43] offset0:22 offset1:33
	ds_write_b64 v250, v[46:47] offset:352
	ds_write2_b64 v249, v[54:55], v[4:5] offset1:11
	ds_write2_b64 v249, v[64:65], v[48:49] offset0:22 offset1:33
	ds_write_b64 v249, v[10:11] offset:352
	ds_write2_b64 v251, v[18:19], v[22:23] offset1:11
	ds_write2_b64 v251, v[84:85], v[50:51] offset0:22 offset1:33
	ds_write_b64 v251, v[26:27] offset:352
	ds_write2_b64 v247, v[14:15], v[118:119] offset1:11
	ds_write2_b64 v247, v[62:63], v[52:53] offset0:22 offset1:33
	ds_write_b64 v247, v[58:59] offset:352
	v_lshrrev_b32_e32 v58, 16, v246
	v_fma_f64 v[72:73], v[144:145], s[4:5], v[100:101]
	v_fma_f64 v[100:101], v[182:183], s[4:5], v[28:29]
	;; [unrolled: 1-line block ×6, first 2 shown]
	v_sub_nc_u16 v54, v186, v58
	v_fma_f64 v[78:79], v[136:137], s[4:5], v[108:109]
	v_fma_f64 v[98:99], v[136:137], s[4:5], v[0:1]
	;; [unrolled: 1-line block ×3, first 2 shown]
	v_lshlrev_b64 v[50:51], 4, v[180:181]
	v_lshrrev_b16 v52, 13, v245
	v_fma_f64 v[112:113], v[114:115], s[4:5], v[16:17]
	v_fma_f64 v[114:115], v[24:25], s[4:5], v[20:21]
	;; [unrolled: 1-line block ×3, first 2 shown]
	v_mul_lo_u16 v53, 0x95, v196
	v_lshrrev_b16 v61, 1, v54
	v_mul_lo_u16 v59, v52, 55
	v_add_co_u32 v64, s0, s8, v50
	v_lshrrev_b16 v60, 13, v53
	v_add_nc_u16 v70, v61, v58
	v_add_co_ci_u32_e64 v65, s0, s9, v51, s0
	v_sub_nc_u16 v62, v187, v59
	v_mul_lo_u16 v63, v60, 55
	v_lshrrev_b16 v70, 5, v70
	s_waitcnt lgkmcnt(0)
	s_barrier
	buffer_gl0_inv
	ds_read2_b64 v[8:11], v177 offset1:55
	ds_read2_b64 v[0:3], v188 offset0:92 offset1:147
	ds_read2_b64 v[30:33], v190 offset0:38 offset1:93
	;; [unrolled: 1-line block ×11, first 2 shown]
	ds_read_b64 v[28:29], v177 offset:10560
	s_waitcnt lgkmcnt(0)
	s_barrier
	buffer_gl0_inv
	ds_write2_b64 v248, v[90:91], v[82:83] offset1:11
	ds_write2_b64 v248, v[94:95], v[96:97] offset0:22 offset1:33
	ds_write_b64 v248, v[88:89] offset:352
	ds_write2_b64 v250, v[110:111], v[100:101] offset1:11
	ds_write2_b64 v250, v[104:105], v[106:107] offset0:22 offset1:33
	ds_write_b64 v250, v[102:103] offset:352
	;; [unrolled: 3-line block ×5, first 2 shown]
	s_waitcnt lgkmcnt(0)
	s_barrier
	buffer_gl0_inv
	s_clause 0x3
	global_load_dwordx4 v[50:53], v[64:65], off offset:720
	global_load_dwordx4 v[54:57], v[64:65], off offset:704
	;; [unrolled: 1-line block ×4, first 2 shown]
	v_and_b32_e32 v62, 0xff, v62
	v_sub_nc_u16 v63, v195, v63
	v_mul_lo_u16 v78, v70, 55
	v_lshlrev_b32_e32 v82, 6, v62
	v_and_b32_e32 v63, 0xff, v63
	v_sub_nc_u16 v86, v186, v78
	s_clause 0x1
	global_load_dwordx4 v[70:73], v82, s[8:9] offset:704
	global_load_dwordx4 v[74:77], v82, s[8:9] offset:720
	v_lshlrev_b32_e32 v98, 6, v63
	v_and_b32_e32 v122, 0xffff, v86
	s_clause 0x4
	global_load_dwordx4 v[78:81], v82, s[8:9] offset:736
	global_load_dwordx4 v[82:85], v82, s[8:9] offset:752
	;; [unrolled: 1-line block ×5, first 2 shown]
	v_lshlrev_b32_e32 v114, 6, v122
	s_clause 0x4
	global_load_dwordx4 v[98:101], v98, s[8:9] offset:752
	global_load_dwordx4 v[102:105], v114, s[8:9] offset:704
	;; [unrolled: 1-line block ×5, first 2 shown]
	ds_read2_b64 v[118:121], v188 offset0:92 offset1:147
	v_lshl_add_u32 v243, v122, 3, 0
	ds_read2_b64 v[122:125], v190 offset0:38 offset1:93
	ds_read2_b64 v[126:129], v192 offset0:2 offset1:57
	;; [unrolled: 1-line block ×3, first 2 shown]
	v_lshl_add_u32 v180, v62, 3, 0
	v_lshl_add_u32 v242, v63, 3, 0
	ds_read2_b64 v[134:137], v189 offset0:74 offset1:129
	ds_read2_b64 v[138:141], v177 offset1:55
	ds_read2_b64 v[142:145], v192 offset0:112 offset1:167
	ds_read2_b64 v[146:149], v177 offset0:110 offset1:165
	;; [unrolled: 1-line block ×6, first 2 shown]
	ds_read_b64 v[62:63], v177 offset:10560
	v_add_nc_u32_e32 v246, 0x2000, v243
	s_waitcnt vmcnt(0) lgkmcnt(0)
	v_add_nc_u32_e32 v244, 0x1000, v180
	v_add_nc_u32_e32 v245, 0x1800, v242
	s_barrier
	buffer_gl0_inv
	v_mul_f64 v[170:171], v[122:123], v[52:53]
	v_mul_f64 v[166:167], v[120:121], v[56:57]
	;; [unrolled: 1-line block ×32, first 2 shown]
	v_fma_f64 v[30:31], v[30:31], v[50:51], v[170:171]
	v_fma_f64 v[32:33], v[32:33], v[50:51], v[200:201]
	v_mul_f64 v[170:171], v[160:161], v[104:105]
	v_mul_f64 v[104:105], v[22:23], v[104:105]
	v_fma_f64 v[122:123], v[122:123], v[50:51], -v[172:173]
	v_fma_f64 v[50:51], v[124:125], v[50:51], -v[52:53]
	v_mul_f64 v[52:53], v[126:127], v[108:109]
	v_mul_f64 v[124:125], v[164:165], v[112:113]
	;; [unrolled: 1-line block ×3, first 2 shown]
	v_fma_f64 v[2:3], v[2:3], v[54:55], v[166:167]
	v_fma_f64 v[120:121], v[120:121], v[54:55], -v[168:169]
	v_fma_f64 v[38:39], v[38:39], v[54:55], v[198:199]
	v_fma_f64 v[54:55], v[134:135], v[54:55], -v[56:57]
	;; [unrolled: 2-line block ×6, first 2 shown]
	v_mul_f64 v[108:109], v[12:13], v[108:109]
	v_mul_f64 v[56:57], v[62:63], v[116:117]
	v_mul_f64 v[116:117], v[28:29], v[116:117]
	v_fma_f64 v[40:41], v[40:41], v[70:71], v[206:207]
	v_fma_f64 v[46:47], v[46:47], v[74:75], v[208:209]
	;; [unrolled: 1-line block ×4, first 2 shown]
	v_fma_f64 v[66:67], v[136:137], v[70:71], -v[72:73]
	v_fma_f64 v[20:21], v[20:21], v[86:87], v[214:215]
	v_fma_f64 v[48:49], v[48:49], v[90:91], v[216:217]
	v_fma_f64 v[16:17], v[16:17], v[94:95], v[218:219]
	v_fma_f64 v[68:69], v[150:151], v[74:75], -v[76:77]
	v_fma_f64 v[70:71], v[144:145], v[78:79], -v[80:81]
	;; [unrolled: 1-line block ×3, first 2 shown]
	v_fma_f64 v[26:27], v[26:27], v[98:99], v[220:221]
	v_fma_f64 v[74:75], v[158:159], v[86:87], -v[88:89]
	v_fma_f64 v[76:77], v[152:153], v[90:91], -v[92:93]
	v_fma_f64 v[78:79], v[162:163], v[94:95], -v[96:97]
	v_fma_f64 v[80:81], v[156:157], v[98:99], -v[100:101]
	v_fma_f64 v[22:23], v[22:23], v[102:103], v[170:171]
	v_fma_f64 v[82:83], v[160:161], v[102:103], -v[104:105]
	v_fma_f64 v[12:13], v[12:13], v[106:107], v[52:53]
	v_fma_f64 v[18:19], v[18:19], v[110:111], v[124:125]
	v_fma_f64 v[84:85], v[164:165], v[110:111], -v[112:113]
	v_add_f64 v[86:87], v[30:31], v[14:15]
	v_add_f64 v[96:97], v[2:3], v[34:35]
	;; [unrolled: 1-line block ×8, first 2 shown]
	v_fma_f64 v[52:53], v[126:127], v[106:107], -v[108:109]
	v_fma_f64 v[28:29], v[28:29], v[114:115], v[56:57]
	v_add_f64 v[108:109], v[120:121], -v[122:123]
	v_add_f64 v[110:111], v[130:131], -v[128:129]
	v_fma_f64 v[56:57], v[62:63], v[114:115], -v[116:117]
	v_add_f64 v[62:63], v[8:9], v[2:3]
	v_add_f64 v[88:89], v[120:121], -v[130:131]
	v_add_f64 v[102:103], v[138:139], v[120:121]
	v_add_f64 v[114:115], v[122:123], -v[120:121]
	v_add_f64 v[116:117], v[128:129], -v[130:131]
	v_add_f64 v[120:121], v[10:11], v[38:39]
	v_add_f64 v[134:135], v[38:39], -v[32:33]
	v_add_f64 v[136:137], v[36:37], -v[42:43]
	;; [unrolled: 1-line block ×4, first 2 shown]
	v_add_f64 v[166:167], v[4:5], v[40:41]
	v_add_f64 v[98:99], v[30:31], -v[2:3]
	v_add_f64 v[100:101], v[14:15], -v[34:35]
	v_add_f64 v[168:169], v[46:47], v[44:45]
	v_add_f64 v[126:127], v[54:55], -v[60:61]
	v_add_f64 v[152:153], v[140:141], v[54:55]
	v_add_f64 v[158:159], v[54:55], -v[50:51]
	v_add_f64 v[160:161], v[60:61], -v[58:59]
	;; [unrolled: 1-line block ×4, first 2 shown]
	v_add_f64 v[184:185], v[40:41], v[24:25]
	v_add_f64 v[200:201], v[146:147], v[66:67]
	;; [unrolled: 1-line block ×4, first 2 shown]
	v_add_f64 v[196:197], v[46:47], -v[40:41]
	v_add_f64 v[198:199], v[44:45], -v[24:25]
	v_add_f64 v[202:203], v[68:69], v[70:71]
	v_add_f64 v[210:211], v[66:67], v[72:73]
	;; [unrolled: 1-line block ×3, first 2 shown]
	v_add_f64 v[218:219], v[74:75], -v[80:81]
	v_add_f64 v[232:233], v[148:149], v[74:75]
	v_add_f64 v[238:239], v[74:75], -v[76:77]
	v_fma_f64 v[86:87], v[86:87], -0.5, v[8:9]
	v_fma_f64 v[8:9], v[96:97], -0.5, v[8:9]
	;; [unrolled: 1-line block ×4, first 2 shown]
	v_add_f64 v[124:125], v[74:75], v[80:81]
	v_add_f64 v[74:75], v[76:77], -v[74:75]
	v_add_f64 v[142:143], v[78:79], -v[80:81]
	v_fma_f64 v[104:105], v[104:105], -0.5, v[138:139]
	v_fma_f64 v[112:113], v[112:113], -0.5, v[138:139]
	;; [unrolled: 1-line block ×4, first 2 shown]
	v_add_f64 v[154:155], v[0:1], v[22:23]
	v_add_f64 v[162:163], v[12:13], v[18:19]
	v_add_f64 v[92:93], v[2:3], -v[30:31]
	v_add_f64 v[94:95], v[34:35], -v[14:15]
	v_add_f64 v[108:109], v[108:109], v[110:111]
	v_add_f64 v[110:111], v[22:23], v[28:29]
	v_add_f64 v[106:107], v[30:31], -v[14:15]
	v_add_f64 v[156:157], v[32:33], -v[42:43]
	;; [unrolled: 1-line block ×7, first 2 shown]
	v_add_f64 v[234:235], v[76:77], v[78:79]
	v_add_f64 v[30:31], v[62:63], v[30:31]
	;; [unrolled: 1-line block ×3, first 2 shown]
	v_add_f64 v[116:117], v[12:13], -v[22:23]
	v_add_f64 v[32:33], v[120:121], v[32:33]
	v_add_f64 v[120:121], v[18:19], -v[28:29]
	v_add_f64 v[134:135], v[134:135], v[136:137]
	v_add_f64 v[136:137], v[118:119], v[82:83]
	;; [unrolled: 1-line block ×6, first 2 shown]
	v_add_f64 v[90:91], v[122:123], -v[128:129]
	v_add_f64 v[98:99], v[98:99], v[100:101]
	v_add_f64 v[100:101], v[22:23], -v[12:13]
	v_add_f64 v[102:103], v[102:103], v[122:123]
	v_add_f64 v[122:123], v[28:29], -v[18:19]
	v_add_f64 v[2:3], v[2:3], -v[34:35]
	;; [unrolled: 1-line block ×4, first 2 shown]
	v_fma_f64 v[168:169], v[168:169], -0.5, v[4:5]
	v_add_f64 v[172:173], v[68:69], -v[70:71]
	v_add_f64 v[158:159], v[158:159], v[160:161]
	v_add_f64 v[160:161], v[82:83], -v[52:53]
	v_add_f64 v[54:55], v[54:55], v[164:165]
	v_add_f64 v[164:165], v[56:57], -v[84:85]
	v_fma_f64 v[4:5], v[184:185], -0.5, v[4:5]
	v_add_f64 v[66:67], v[68:69], -v[66:67]
	v_add_f64 v[222:223], v[20:21], -v[48:49]
	;; [unrolled: 1-line block ×4, first 2 shown]
	v_add_f64 v[68:69], v[200:201], v[68:69]
	v_add_f64 v[48:49], v[214:215], v[48:49]
	v_fma_f64 v[200:201], v[216:217], -0.5, v[6:7]
	v_add_f64 v[220:221], v[76:77], -v[78:79]
	v_add_f64 v[184:185], v[196:197], v[198:199]
	v_fma_f64 v[196:197], v[202:203], -0.5, v[146:147]
	v_fma_f64 v[146:147], v[210:211], -0.5, v[146:147]
	;; [unrolled: 1-line block ×3, first 2 shown]
	v_add_f64 v[62:63], v[82:83], -v[56:57]
	v_add_f64 v[50:51], v[152:153], v[50:51]
	v_add_f64 v[152:153], v[12:13], -v[18:19]
	v_add_f64 v[74:75], v[74:75], v[142:143]
	v_add_f64 v[12:13], v[154:155], v[12:13]
	v_fma_f64 v[142:143], v[162:163], -0.5, v[0:1]
	v_add_f64 v[40:41], v[40:41], -v[24:25]
	v_add_f64 v[92:93], v[92:93], v[94:95]
	v_add_f64 v[94:95], v[52:53], -v[84:85]
	v_fma_f64 v[0:1], v[110:111], -0.5, v[0:1]
	v_add_f64 v[20:21], v[20:21], -v[26:27]
	v_add_f64 v[22:23], v[22:23], -v[28:29]
	;; [unrolled: 1-line block ×3, first 2 shown]
	v_add_f64 v[174:175], v[174:175], v[182:183]
	v_add_f64 v[182:183], v[84:85], -v[56:57]
	v_add_f64 v[198:199], v[206:207], v[208:209]
	v_add_f64 v[76:77], v[232:233], v[76:77]
	v_fma_f64 v[208:209], v[234:235], -0.5, v[148:149]
	v_fma_f64 v[124:125], v[124:125], -0.5, v[148:149]
	v_add_f64 v[110:111], v[116:117], v[120:121]
	v_add_f64 v[52:53], v[136:137], v[52:53]
	v_fma_f64 v[116:117], v[150:151], -0.5, v[118:119]
	v_fma_f64 v[118:119], v[166:167], -0.5, v[118:119]
	v_add_f64 v[14:15], v[30:31], v[14:15]
	v_fma_f64 v[30:31], v[88:89], s[12:13], v[86:87]
	v_add_f64 v[100:101], v[100:101], v[122:123]
	v_fma_f64 v[86:87], v[88:89], s[14:15], v[86:87]
	v_fma_f64 v[122:123], v[90:91], s[14:15], v[8:9]
	;; [unrolled: 1-line block ×3, first 2 shown]
	v_add_f64 v[102:103], v[102:103], v[128:129]
	v_fma_f64 v[128:129], v[2:3], s[14:15], v[104:105]
	v_fma_f64 v[104:105], v[2:3], s[12:13], v[104:105]
	;; [unrolled: 1-line block ×4, first 2 shown]
	v_add_f64 v[32:33], v[32:33], v[42:43]
	v_fma_f64 v[42:43], v[126:127], s[12:13], v[96:97]
	v_fma_f64 v[96:97], v[126:127], s[14:15], v[96:97]
	;; [unrolled: 1-line block ×4, first 2 shown]
	v_add_f64 v[38:39], v[38:39], -v[36:37]
	v_fma_f64 v[150:151], v[156:157], s[12:13], v[140:141]
	v_fma_f64 v[140:141], v[156:157], s[14:15], v[140:141]
	v_add_f64 v[44:45], v[46:47], v[44:45]
	v_fma_f64 v[46:47], v[170:171], s[12:13], v[168:169]
	v_add_f64 v[120:121], v[160:161], v[164:165]
	v_fma_f64 v[154:155], v[170:171], s[14:15], v[168:169]
	v_fma_f64 v[160:161], v[172:173], s[14:15], v[4:5]
	;; [unrolled: 1-line block ×3, first 2 shown]
	v_add_f64 v[224:225], v[26:27], -v[16:17]
	v_add_f64 v[230:231], v[16:17], -v[26:27]
	v_add_f64 v[16:17], v[48:49], v[16:17]
	v_fma_f64 v[48:49], v[218:219], s[12:13], v[200:201]
	v_add_f64 v[212:213], v[70:71], -v[72:73]
	v_fma_f64 v[164:165], v[204:205], s[12:13], v[146:147]
	v_fma_f64 v[146:147], v[204:205], s[14:15], v[146:147]
	;; [unrolled: 1-line block ×5, first 2 shown]
	v_add_f64 v[12:13], v[12:13], v[18:19]
	v_fma_f64 v[18:19], v[62:63], s[12:13], v[142:143]
	v_add_f64 v[68:69], v[68:69], v[70:71]
	v_fma_f64 v[70:71], v[40:41], s[14:15], v[196:197]
	v_fma_f64 v[142:143], v[62:63], s[14:15], v[142:143]
	v_fma_f64 v[200:201], v[94:95], s[14:15], v[0:1]
	v_fma_f64 v[0:1], v[94:95], s[12:13], v[0:1]
	v_add_f64 v[240:241], v[80:81], -v[78:79]
	v_add_f64 v[82:83], v[82:83], v[182:183]
	v_fma_f64 v[162:163], v[40:41], s[12:13], v[196:197]
	v_add_f64 v[76:77], v[76:77], v[78:79]
	v_fma_f64 v[78:79], v[20:21], s[14:15], v[208:209]
	v_fma_f64 v[182:183], v[20:21], s[12:13], v[208:209]
	v_fma_f64 v[196:197], v[236:237], s[12:13], v[124:125]
	v_fma_f64 v[124:125], v[236:237], s[14:15], v[124:125]
	v_add_f64 v[52:53], v[52:53], v[84:85]
	v_fma_f64 v[84:85], v[22:23], s[14:15], v[116:117]
	v_fma_f64 v[208:209], v[152:153], s[12:13], v[118:119]
	v_fma_f64 v[118:119], v[152:153], s[14:15], v[118:119]
	;; [unrolled: 5-line block ×3, first 2 shown]
	v_add_f64 v[88:89], v[102:103], v[130:131]
	v_fma_f64 v[102:103], v[106:107], s[6:7], v[104:105]
	v_fma_f64 v[104:105], v[2:3], s[10:11], v[136:137]
	;; [unrolled: 1-line block ×3, first 2 shown]
	v_add_f64 v[32:33], v[32:33], v[36:37]
	v_fma_f64 v[36:37], v[132:133], s[6:7], v[42:43]
	v_fma_f64 v[42:43], v[132:133], s[10:11], v[96:97]
	;; [unrolled: 1-line block ×4, first 2 shown]
	v_add_f64 v[50:51], v[50:51], v[58:59]
	v_fma_f64 v[58:59], v[38:39], s[14:15], v[138:139]
	v_fma_f64 v[138:139], v[38:39], s[12:13], v[138:139]
	;; [unrolled: 1-line block ×5, first 2 shown]
	v_add_f64 v[24:25], v[44:45], v[24:25]
	v_fma_f64 v[44:45], v[172:173], s[6:7], v[46:47]
	v_fma_f64 v[46:47], v[172:173], s[10:11], v[154:155]
	;; [unrolled: 1-line block ×4, first 2 shown]
	v_add_f64 v[202:203], v[222:223], v[224:225]
	v_add_f64 v[16:17], v[16:17], v[26:27]
	v_fma_f64 v[26:27], v[220:221], s[6:7], v[48:49]
	v_add_f64 v[66:67], v[66:67], v[212:213]
	v_add_f64 v[206:207], v[228:229], v[230:231]
	v_fma_f64 v[122:123], v[40:41], s[10:11], v[164:165]
	v_fma_f64 v[40:41], v[40:41], s[6:7], v[146:147]
	v_fma_f64 v[48:49], v[220:221], s[10:11], v[166:167]
	v_fma_f64 v[126:127], v[218:219], s[6:7], v[168:169]
	v_fma_f64 v[6:7], v[218:219], s[10:11], v[6:7]
	v_fma_f64 v[18:19], v[94:95], s[6:7], v[18:19]
	v_add_f64 v[72:73], v[68:69], v[72:73]
	v_fma_f64 v[68:69], v[204:205], s[10:11], v[70:71]
	v_add_f64 v[12:13], v[12:13], v[28:29]
	v_fma_f64 v[28:29], v[94:95], s[10:11], v[142:143]
	v_fma_f64 v[94:95], v[62:63], s[6:7], v[200:201]
	;; [unrolled: 1-line block ×6, first 2 shown]
	v_add_f64 v[52:53], v[52:53], v[56:57]
	v_fma_f64 v[56:57], v[152:153], s[10:11], v[84:85]
	v_fma_f64 v[84:85], v[22:23], s[10:11], v[208:209]
	;; [unrolled: 1-line block ×31, first 2 shown]
	v_add_f64 v[50:51], v[50:51], v[60:61]
	v_fma_f64 v[60:61], v[156:157], s[6:7], v[138:139]
	v_fma_f64 v[28:29], v[100:101], s[4:5], v[28:29]
	;; [unrolled: 1-line block ×3, first 2 shown]
	v_add_f64 v[210:211], v[238:239], v[240:241]
	v_fma_f64 v[78:79], v[236:237], s[10:11], v[78:79]
	v_add_f64 v[76:77], v[76:77], v[80:81]
	v_fma_f64 v[80:81], v[236:237], s[6:7], v[182:183]
	v_fma_f64 v[62:63], v[152:153], s[6:7], v[116:117]
	v_fma_f64 v[94:95], v[74:75], s[4:5], v[128:129]
	v_fma_f64 v[74:75], v[74:75], s[4:5], v[20:21]
	v_fma_f64 v[84:85], v[82:83], s[4:5], v[84:85]
	v_fma_f64 v[82:83], v[82:83], s[4:5], v[22:23]
	ds_write2_b64 v177, v[14:15], v[30:31] offset1:55
	ds_write2_b64 v177, v[86:87], v[8:9] offset0:110 offset1:165
	ds_write2_b64 v188, v[34:35], v[32:33] offset0:92 offset1:147
	;; [unrolled: 1-line block ×6, first 2 shown]
	ds_write_b64 v180, v[44:45] offset:6160
	ds_write2_b64 v245, v[16:17], v[26:27] offset0:57 offset1:112
	ds_write2_b64 v245, v[48:49], v[6:7] offset0:167 offset1:222
	ds_write_b64 v242, v[40:41] offset:8360
	ds_write2_b64 v246, v[12:13], v[18:19] offset0:76 offset1:131
	ds_write2_b64 v246, v[68:69], v[0:1] offset0:186 offset1:241
	ds_write_b64 v243, v[28:29] offset:10560
	s_waitcnt lgkmcnt(0)
	s_barrier
	buffer_gl0_inv
	ds_read2_b64 v[0:3], v177 offset1:55
	ds_read2_b64 v[8:11], v188 offset0:92 offset1:147
	ds_read2_b64 v[16:19], v190 offset0:38 offset1:93
	;; [unrolled: 1-line block ×11, first 2 shown]
	ds_read_b64 v[68:69], v177 offset:10560
	v_fma_f64 v[90:91], v[108:109], s[4:5], v[90:91]
	v_fma_f64 v[58:59], v[158:159], s[4:5], v[58:59]
	;; [unrolled: 1-line block ×3, first 2 shown]
	s_waitcnt lgkmcnt(0)
	s_barrier
	v_fma_f64 v[60:61], v[158:159], s[4:5], v[60:61]
	buffer_gl0_inv
	v_fma_f64 v[70:71], v[198:199], s[4:5], v[70:71]
	v_fma_f64 v[78:79], v[210:211], s[4:5], v[78:79]
	;; [unrolled: 1-line block ×4, first 2 shown]
	ds_write2_b64 v177, v[88:89], v[90:91] offset1:55
	ds_write2_b64 v177, v[98:99], v[102:103] offset0:110 offset1:165
	ds_write2_b64 v188, v[92:93], v[50:51] offset0:92 offset1:147
	;; [unrolled: 1-line block ×6, first 2 shown]
	ds_write_b64 v180, v[70:71] offset:6160
	ds_write2_b64 v245, v[76:77], v[78:79] offset0:57 offset1:112
	ds_write2_b64 v245, v[94:95], v[74:75] offset0:167 offset1:222
	ds_write_b64 v242, v[80:81] offset:8360
	ds_write2_b64 v246, v[52:53], v[56:57] offset0:76 offset1:131
	ds_write2_b64 v246, v[84:85], v[82:83] offset0:186 offset1:241
	ds_write_b64 v243, v[62:63] offset:10560
	s_waitcnt lgkmcnt(0)
	s_barrier
	buffer_gl0_inv
	s_and_saveexec_b32 s0, vcc_lo
	s_cbranch_execz .LBB0_19
; %bb.18:
	v_lshlrev_b32_e32 v180, 2, v186
	v_add_nc_u32_e32 v168, 0x1800, v177
	v_add_nc_u32_e32 v164, 0x800, v177
	;; [unrolled: 1-line block ×4, first 2 shown]
	v_lshlrev_b64 v[48:49], 4, v[180:181]
	v_lshlrev_b32_e32 v180, 2, v195
	v_add_nc_u32_e32 v172, 0x1000, v177
	v_mul_hi_u32 v245, 0xdca01dcb, v186
	v_add_co_u32 v50, vcc_lo, s8, v48
	v_add_co_ci_u32_e32 v51, vcc_lo, s9, v49, vcc_lo
	v_lshlrev_b64 v[48:49], 4, v[180:181]
	v_add_co_u32 v60, vcc_lo, 0x1080, v50
	v_add_co_ci_u32_e32 v61, vcc_lo, 0, v51, vcc_lo
	v_add_co_u32 v50, vcc_lo, 0x1000, v50
	v_add_co_ci_u32_e32 v51, vcc_lo, 0, v51, vcc_lo
	;; [unrolled: 2-line block ×3, first 2 shown]
	v_lshlrev_b32_e32 v180, 2, v187
	v_add_co_u32 v66, vcc_lo, 0x1080, v72
	v_add_co_ci_u32_e32 v67, vcc_lo, 0, v73, vcc_lo
	v_add_co_u32 v70, vcc_lo, 0x1080, v64
	v_add_co_ci_u32_e32 v71, vcc_lo, 0, v65, vcc_lo
	v_add_co_u32 v64, vcc_lo, 0x1000, v64
	v_lshlrev_b64 v[96:97], 4, v[180:181]
	v_add_co_ci_u32_e32 v65, vcc_lo, 0, v65, vcc_lo
	v_add_co_u32 v84, vcc_lo, 0x1000, v72
	v_add_co_ci_u32_e32 v85, vcc_lo, 0, v73, vcc_lo
	s_clause 0x9
	global_load_dwordx4 v[48:51], v[50:51], off offset:128
	global_load_dwordx4 v[52:55], v[60:61], off offset:48
	;; [unrolled: 1-line block ×10, first 2 shown]
	v_add_co_u32 v70, vcc_lo, s8, v96
	v_add_co_ci_u32_e32 v71, vcc_lo, s9, v97, vcc_lo
	v_lshlrev_b32_e32 v180, 2, v194
	v_add_co_u32 v64, vcc_lo, 0x1000, v70
	v_add_co_ci_u32_e32 v65, vcc_lo, 0, v71, vcc_lo
	s_clause 0x1
	global_load_dwordx4 v[96:99], v[66:67], off offset:32
	global_load_dwordx4 v[100:103], v[66:67], off offset:16
	v_add_co_u32 v66, vcc_lo, 0x1080, v70
	v_add_co_ci_u32_e32 v67, vcc_lo, 0, v71, vcc_lo
	v_lshlrev_b64 v[70:71], 4, v[180:181]
	s_clause 0x3
	global_load_dwordx4 v[104:107], v[64:65], off offset:128
	global_load_dwordx4 v[108:111], v[66:67], off offset:48
	;; [unrolled: 1-line block ×4, first 2 shown]
	v_add_nc_u32_e32 v180, 0x2000, v177
	v_add_co_u32 v70, vcc_lo, s8, v70
	v_add_co_ci_u32_e32 v71, vcc_lo, s9, v71, vcc_lo
	v_add_co_u32 v64, vcc_lo, 0x1080, v70
	v_add_co_ci_u32_e32 v65, vcc_lo, 0, v71, vcc_lo
	;; [unrolled: 2-line block ×3, first 2 shown]
	s_clause 0x3
	global_load_dwordx4 v[120:123], v[64:65], off offset:16
	global_load_dwordx4 v[124:127], v[66:67], off offset:128
	;; [unrolled: 1-line block ×4, first 2 shown]
	ds_read_b64 v[182:183], v177 offset:10560
	ds_read2_b64 v[136:139], v177 offset0:110 offset1:165
	ds_read2_b64 v[64:67], v177 offset1:55
	v_mov_b32_e32 v177, v181
	v_add_co_u32 v70, vcc_lo, s2, v178
	v_add_co_ci_u32_e32 v71, vcc_lo, s3, v179, vcc_lo
	ds_read2_b64 v[140:143], v168 offset0:2 offset1:57
	ds_read2_b64 v[144:147], v164 offset0:184 offset1:239
	;; [unrolled: 1-line block ×7, first 2 shown]
	v_lshlrev_b64 v[184:185], 4, v[176:177]
	ds_read2_b64 v[168:171], v168 offset0:112 offset1:167
	ds_read2_b64 v[172:175], v172 offset0:38 offset1:93
	;; [unrolled: 1-line block ×3, first 2 shown]
	v_sub_nc_u32_e32 v180, v186, v245
	v_add_co_u32 v184, vcc_lo, v70, v184
	v_add_co_ci_u32_e32 v185, vcc_lo, v71, v185, vcc_lo
	v_lshrrev_b32_e32 v180, 1, v180
	v_add_co_u32 v187, vcc_lo, 0x1000, v184
	v_add_co_ci_u32_e32 v188, vcc_lo, 0, v185, vcc_lo
	v_add_co_u32 v189, vcc_lo, 0x2000, v184
	v_add_co_ci_u32_e32 v190, vcc_lo, 0, v185, vcc_lo
	;; [unrolled: 2-line block ×6, first 2 shown]
	s_waitcnt vmcnt(15)
	v_mul_f64 v[201:202], v[10:11], v[74:75]
	s_waitcnt vmcnt(14)
	v_mul_f64 v[203:204], v[46:47], v[78:79]
	;; [unrolled: 2-line block ×3, first 2 shown]
	s_waitcnt lgkmcnt(1)
	v_mul_f64 v[82:83], v[172:173], v[82:83]
	v_mul_f64 v[78:79], v[142:143], v[78:79]
	s_waitcnt vmcnt(10)
	v_mul_f64 v[205:206], v[12:13], v[94:95]
	v_mul_f64 v[74:75], v[154:155], v[74:75]
	s_waitcnt lgkmcnt(0)
	v_mul_f64 v[94:95], v[176:177], v[94:95]
	v_mul_f64 v[207:208], v[44:45], v[62:63]
	;; [unrolled: 1-line block ×9, first 2 shown]
	s_waitcnt vmcnt(8)
	v_mul_f64 v[215:216], v[34:35], v[102:103]
	v_mul_f64 v[217:218], v[36:37], v[86:87]
	;; [unrolled: 1-line block ×8, first 2 shown]
	v_fma_f64 v[172:173], v[172:173], v[80:81], -v[199:200]
	v_fma_f64 v[154:155], v[154:155], v[72:73], -v[201:202]
	;; [unrolled: 1-line block ×4, first 2 shown]
	v_fma_f64 v[16:17], v[16:17], v[80:81], v[82:83]
	v_fma_f64 v[46:47], v[46:47], v[76:77], v[78:79]
	;; [unrolled: 1-line block ×4, first 2 shown]
	s_waitcnt vmcnt(4)
	v_mul_f64 v[72:73], v[32:33], v[118:119]
	v_mul_f64 v[74:75], v[22:23], v[106:107]
	;; [unrolled: 1-line block ×8, first 2 shown]
	s_waitcnt vmcnt(3)
	v_mul_f64 v[106:107], v[18:19], v[122:123]
	v_fma_f64 v[110:111], v[140:141], v[60:61], -v[207:208]
	s_waitcnt vmcnt(2)
	v_mul_f64 v[114:115], v[20:21], v[126:127]
	s_waitcnt vmcnt(1)
	v_mul_f64 v[118:119], v[24:25], v[130:131]
	v_fma_f64 v[44:45], v[44:45], v[60:61], v[62:63]
	s_waitcnt vmcnt(0)
	v_mul_f64 v[60:61], v[14:15], v[134:135]
	v_mul_f64 v[62:63], v[174:175], v[122:123]
	;; [unrolled: 1-line block ×4, first 2 shown]
	v_fma_f64 v[130:131], v[182:183], v[52:53], -v[213:214]
	v_mul_f64 v[134:135], v[178:179], v[134:135]
	v_fma_f64 v[140:141], v[146:147], v[48:49], -v[209:210]
	v_fma_f64 v[146:147], v[150:151], v[56:57], -v[211:212]
	v_fma_f64 v[42:43], v[42:43], v[56:57], v[58:59]
	v_fma_f64 v[38:39], v[38:39], v[48:49], v[50:51]
	;; [unrolled: 1-line block ×3, first 2 shown]
	v_fma_f64 v[50:51], v[158:159], v[100:101], -v[215:216]
	v_fma_f64 v[52:53], v[144:145], v[84:85], -v[217:218]
	;; [unrolled: 1-line block ×4, first 2 shown]
	v_fma_f64 v[34:35], v[34:35], v[100:101], v[102:103]
	v_fma_f64 v[40:41], v[40:41], v[96:97], v[98:99]
	;; [unrolled: 1-line block ×4, first 2 shown]
	v_add_f64 v[58:59], v[172:173], -v[154:155]
	v_add_f64 v[68:69], v[142:143], -v[176:177]
	v_add_f64 v[86:87], v[154:155], v[176:177]
	v_add_f64 v[88:89], v[10:11], -v[12:13]
	v_add_f64 v[90:91], v[154:155], -v[172:173]
	;; [unrolled: 1-line block ×3, first 2 shown]
	v_add_f64 v[98:99], v[172:173], v[142:143]
	v_add_f64 v[100:101], v[154:155], v[64:65]
	v_add_f64 v[102:103], v[16:17], -v[10:11]
	v_add_f64 v[144:145], v[46:47], -v[12:13]
	v_add_f64 v[150:151], v[10:11], v[12:13]
	v_add_f64 v[158:159], v[10:11], -v[16:17]
	v_add_f64 v[162:163], v[12:13], -v[46:47]
	v_add_f64 v[10:11], v[0:1], v[10:11]
	v_fma_f64 v[72:73], v[156:157], v[116:117], -v[72:73]
	v_fma_f64 v[74:75], v[166:167], v[104:105], -v[74:75]
	;; [unrolled: 1-line block ×4, first 2 shown]
	v_fma_f64 v[32:33], v[32:33], v[116:117], v[80:81]
	v_fma_f64 v[26:27], v[26:27], v[112:113], v[82:83]
	;; [unrolled: 1-line block ×4, first 2 shown]
	v_fma_f64 v[80:81], v[174:175], v[120:121], -v[106:107]
	v_fma_f64 v[82:83], v[164:165], v[124:125], -v[114:115]
	;; [unrolled: 1-line block ×4, first 2 shown]
	v_fma_f64 v[18:19], v[18:19], v[120:121], v[62:63]
	v_fma_f64 v[24:25], v[24:25], v[128:129], v[122:123]
	;; [unrolled: 1-line block ×4, first 2 shown]
	v_add_f64 v[14:15], v[110:111], -v[140:141]
	v_add_f64 v[94:95], v[146:147], -v[130:131]
	v_add_f64 v[106:107], v[140:141], v[130:131]
	v_add_f64 v[108:109], v[38:39], -v[48:49]
	v_add_f64 v[112:113], v[140:141], -v[110:111]
	;; [unrolled: 1-line block ×3, first 2 shown]
	v_add_f64 v[118:119], v[140:141], v[152:153]
	v_add_f64 v[120:121], v[44:45], -v[38:39]
	v_add_f64 v[124:125], v[140:141], -v[130:131]
	v_add_f64 v[126:127], v[38:39], v[48:49]
	v_add_f64 v[132:133], v[38:39], -v[44:45]
	v_add_f64 v[134:135], v[48:49], -v[42:43]
	v_add_f64 v[140:141], v[44:45], v[42:43]
	v_add_f64 v[38:39], v[8:9], v[38:39]
	v_add_f64 v[156:157], v[50:51], -v[52:53]
	v_add_f64 v[160:161], v[54:55], -v[56:57]
	v_add_f64 v[182:183], v[16:17], v[46:47]
	v_add_f64 v[84:85], v[16:17], -v[46:47]
	v_add_f64 v[148:149], v[154:155], -v[176:177]
	;; [unrolled: 1-line block ×4, first 2 shown]
	v_add_f64 v[116:117], v[110:111], v[146:147]
	v_add_f64 v[128:129], v[110:111], -v[146:147]
	v_add_f64 v[168:169], v[36:37], -v[30:31]
	;; [unrolled: 1-line block ×6, first 2 shown]
	v_add_f64 v[205:206], v[36:37], v[30:31]
	v_add_f64 v[209:210], v[36:37], -v[34:35]
	v_add_f64 v[36:37], v[6:7], v[36:37]
	v_add_f64 v[58:59], v[58:59], v[68:69]
	v_fma_f64 v[68:69], v[86:87], -0.5, v[64:65]
	v_add_f64 v[86:87], v[90:91], v[96:97]
	v_fma_f64 v[64:65], v[98:99], -0.5, v[64:65]
	v_add_f64 v[90:91], v[172:173], v[100:101]
	v_add_f64 v[96:97], v[102:103], v[144:145]
	v_fma_f64 v[98:99], v[150:151], -0.5, v[0:1]
	v_add_f64 v[100:101], v[158:159], v[162:163]
	v_add_f64 v[10:11], v[16:17], v[10:11]
	v_add_f64 v[16:17], v[72:73], -v[74:75]
	v_add_f64 v[102:103], v[76:77], -v[78:79]
	v_add_f64 v[150:151], v[74:75], v[78:79]
	v_add_f64 v[158:159], v[22:23], -v[28:29]
	v_add_f64 v[217:218], v[32:33], -v[22:23]
	v_add_f64 v[221:222], v[22:23], v[28:29]
	v_add_f64 v[225:226], v[22:23], -v[32:33]
	v_add_f64 v[22:23], v[4:5], v[22:23]
	v_add_f64 v[237:238], v[82:83], v[60:61]
	v_fma_f64 v[126:127], v[126:127], -0.5, v[8:9]
	v_fma_f64 v[8:9], v[140:141], -0.5, v[8:9]
	v_add_f64 v[140:141], v[80:81], v[92:93]
	v_add_f64 v[94:95], v[14:15], v[94:95]
	v_add_f64 v[14:15], v[18:19], -v[20:21]
	v_add_f64 v[112:113], v[112:113], v[114:115]
	v_add_f64 v[114:115], v[24:25], -v[62:63]
	v_add_f64 v[110:111], v[110:111], v[118:119]
	v_add_f64 v[118:119], v[20:21], v[62:63]
	;; [unrolled: 1-line block ×3, first 2 shown]
	v_add_f64 v[134:135], v[20:21], -v[18:19]
	v_add_f64 v[38:39], v[44:45], v[38:39]
	v_add_f64 v[44:45], v[62:63], -v[24:25]
	v_add_f64 v[156:157], v[156:157], v[160:161]
	v_add_f64 v[160:161], v[18:19], v[24:25]
	v_add_f64 v[122:123], v[42:43], -v[48:49]
	v_fma_f64 v[0:1], v[182:183], -0.5, v[0:1]
	v_add_f64 v[162:163], v[74:75], -v[72:73]
	v_add_f64 v[172:173], v[78:79], -v[76:77]
	v_add_f64 v[182:183], v[72:73], v[76:77]
	v_add_f64 v[215:216], v[74:75], v[136:137]
	;; [unrolled: 1-line block ×8, first 2 shown]
	v_add_f64 v[239:240], v[20:21], -v[62:63]
	v_add_f64 v[20:21], v[2:3], v[20:21]
	v_add_f64 v[164:165], v[34:35], -v[40:41]
	v_add_f64 v[144:145], v[32:33], -v[26:27]
	;; [unrolled: 1-line block ×4, first 2 shown]
	v_fma_f64 v[106:107], v[106:107], -0.5, v[152:153]
	v_fma_f64 v[116:117], v[116:117], -0.5, v[152:153]
	v_add_f64 v[152:153], v[82:83], -v[80:81]
	v_add_f64 v[82:83], v[82:83], -v[60:61]
	v_add_f64 v[170:171], v[170:171], v[174:175]
	v_add_f64 v[174:175], v[201:202], v[203:204]
	;; [unrolled: 1-line block ×3, first 2 shown]
	v_fma_f64 v[36:37], v[84:85], s[14:15], v[68:69]
	v_fma_f64 v[68:69], v[84:85], s[12:13], v[68:69]
	;; [unrolled: 1-line block ×4, first 2 shown]
	v_add_f64 v[90:91], v[142:143], v[90:91]
	v_fma_f64 v[142:143], v[154:155], s[12:13], v[98:99]
	v_add_f64 v[102:103], v[16:17], v[102:103]
	v_fma_f64 v[16:17], v[150:151], -0.5, v[136:137]
	v_add_f64 v[22:23], v[32:33], v[22:23]
	v_fma_f64 v[32:33], v[237:238], -0.5, v[66:67]
	v_fma_f64 v[66:67], v[140:141], -0.5, v[66:67]
	v_add_f64 v[114:115], v[14:15], v[114:115]
	v_fma_f64 v[14:15], v[118:119], -0.5, v[2:3]
	v_add_f64 v[118:119], v[134:135], v[44:45]
	v_fma_f64 v[44:45], v[160:161], -0.5, v[2:3]
	v_add_f64 v[211:212], v[30:31], -v[40:41]
	v_add_f64 v[223:224], v[72:73], -v[76:77]
	v_add_f64 v[235:236], v[18:19], -v[24:25]
	v_add_f64 v[120:121], v[120:121], v[122:123]
	v_add_f64 v[122:123], v[80:81], -v[92:93]
	v_fma_f64 v[98:99], v[154:155], s[14:15], v[98:99]
	v_fma_f64 v[203:204], v[148:149], s[14:15], v[0:1]
	;; [unrolled: 1-line block ×3, first 2 shown]
	v_add_f64 v[10:11], v[10:11], v[46:47]
	v_add_f64 v[150:151], v[162:163], v[172:173]
	v_fma_f64 v[46:47], v[182:183], -0.5, v[136:137]
	v_add_f64 v[72:73], v[72:73], v[215:216]
	v_fma_f64 v[162:163], v[221:222], -0.5, v[4:5]
	v_add_f64 v[80:81], v[80:81], v[243:244]
	v_add_f64 v[74:75], v[74:75], -v[78:79]
	v_fma_f64 v[4:5], v[229:230], -0.5, v[4:5]
	v_add_f64 v[52:53], v[52:53], -v[56:57]
	v_fma_f64 v[166:167], v[166:167], -0.5, v[138:139]
	v_fma_f64 v[138:139], v[178:179], -0.5, v[138:139]
	;; [unrolled: 1-line block ×4, first 2 shown]
	v_add_f64 v[207:208], v[50:51], -v[54:55]
	v_add_f64 v[50:51], v[50:51], v[199:200]
	v_add_f64 v[18:19], v[18:19], v[20:21]
	v_add_f64 v[241:242], v[60:61], -v[92:93]
	v_add_f64 v[136:137], v[217:218], v[219:220]
	v_add_f64 v[34:35], v[34:35], v[40:41]
	v_fma_f64 v[40:41], v[88:89], s[10:11], v[68:69]
	v_fma_f64 v[68:69], v[84:85], s[6:7], v[201:202]
	;; [unrolled: 1-line block ×9, first 2 shown]
	v_add_f64 v[233:234], v[92:93], -v[60:61]
	v_add_f64 v[199:200], v[209:210], v[211:212]
	v_fma_f64 v[20:21], v[104:105], s[14:15], v[106:107]
	v_fma_f64 v[36:37], v[88:89], s[6:7], v[36:37]
	v_add_f64 v[2:3], v[176:177], v[90:91]
	v_fma_f64 v[88:89], v[148:149], s[6:7], v[98:99]
	v_fma_f64 v[90:91], v[154:155], s[10:11], v[203:204]
	;; [unrolled: 1-line block ×3, first 2 shown]
	v_add_f64 v[0:1], v[10:11], v[12:13]
	v_fma_f64 v[154:155], v[158:159], s[12:13], v[46:47]
	v_fma_f64 v[46:47], v[158:159], s[14:15], v[46:47]
	v_add_f64 v[72:73], v[76:77], v[72:73]
	v_fma_f64 v[76:77], v[223:224], s[12:13], v[162:163]
	v_fma_f64 v[162:163], v[223:224], s[14:15], v[162:163]
	;; [unrolled: 1-line block ×5, first 2 shown]
	v_add_f64 v[80:81], v[92:93], v[80:81]
	v_fma_f64 v[92:93], v[122:123], s[12:13], v[14:15]
	v_add_f64 v[227:228], v[28:29], -v[26:27]
	v_fma_f64 v[201:202], v[74:75], s[12:13], v[4:5]
	v_fma_f64 v[148:149], v[144:145], s[12:13], v[16:17]
	;; [unrolled: 1-line block ×5, first 2 shown]
	v_add_f64 v[110:111], v[146:147], v[110:111]
	v_fma_f64 v[140:141], v[128:129], s[12:13], v[126:127]
	v_add_f64 v[38:39], v[38:39], v[42:43]
	v_fma_f64 v[42:43], v[164:165], s[14:15], v[166:167]
	v_fma_f64 v[160:161], v[164:165], s[12:13], v[166:167]
	v_fma_f64 v[166:167], v[168:169], s[12:13], v[138:139]
	v_fma_f64 v[138:139], v[168:169], s[14:15], v[138:139]
	v_fma_f64 v[209:210], v[52:53], s[12:13], v[6:7]
	v_add_f64 v[203:204], v[22:23], v[26:27]
	v_fma_f64 v[116:117], v[108:109], s[14:15], v[116:117]
	v_fma_f64 v[126:127], v[128:129], s[14:15], v[126:127]
	v_fma_f64 v[146:147], v[124:125], s[14:15], v[8:9]
	v_fma_f64 v[8:9], v[124:125], s[12:13], v[8:9]
	v_add_f64 v[50:51], v[54:55], v[50:51]
	v_fma_f64 v[54:55], v[207:208], s[12:13], v[178:179]
	v_fma_f64 v[178:179], v[207:208], s[14:15], v[178:179]
	v_add_f64 v[219:220], v[18:19], v[24:25]
	v_add_f64 v[152:153], v[152:153], v[241:242]
	v_fma_f64 v[22:23], v[86:87], s[4:5], v[68:69]
	v_fma_f64 v[26:27], v[86:87], s[4:5], v[64:65]
	;; [unrolled: 1-line block ×5, first 2 shown]
	v_add_f64 v[182:183], v[231:232], v[233:234]
	v_fma_f64 v[221:222], v[108:109], s[6:7], v[20:21]
	v_fma_f64 v[12:13], v[96:97], s[4:5], v[84:85]
	;; [unrolled: 1-line block ×5, first 2 shown]
	global_store_dwordx4 v[184:185], v[0:3], off
	v_fma_f64 v[90:91], v[144:145], s[6:7], v[154:155]
	v_fma_f64 v[64:65], v[144:145], s[10:11], v[46:47]
	v_add_f64 v[2:3], v[78:79], v[72:73]
	v_fma_f64 v[96:97], v[74:75], s[10:11], v[76:77]
	v_fma_f64 v[98:99], v[74:75], s[6:7], v[162:163]
	;; [unrolled: 1-line block ×8, first 2 shown]
	v_add_f64 v[172:173], v[225:226], v[227:228]
	v_fma_f64 v[84:85], v[223:224], s[6:7], v[201:202]
	v_fma_f64 v[88:89], v[158:159], s[10:11], v[148:149]
	;; [unrolled: 1-line block ×8, first 2 shown]
	v_add_f64 v[6:7], v[130:131], v[110:111]
	v_fma_f64 v[110:111], v[124:125], s[10:11], v[140:141]
	v_fma_f64 v[134:135], v[164:165], s[10:11], v[138:139]
	;; [unrolled: 1-line block ×3, first 2 shown]
	v_add_f64 v[0:1], v[203:204], v[28:29]
	v_fma_f64 v[104:105], v[104:105], s[10:11], v[116:117]
	v_fma_f64 v[116:117], v[124:125], s[6:7], v[126:127]
	;; [unrolled: 1-line block ×5, first 2 shown]
	v_add_f64 v[10:11], v[56:57], v[50:51]
	v_fma_f64 v[56:57], v[52:53], s[10:11], v[54:55]
	v_fma_f64 v[52:53], v[52:53], s[6:7], v[178:179]
	v_add_f64 v[8:9], v[34:35], v[30:31]
	v_add_f64 v[30:31], v[60:61], v[80:81]
	;; [unrolled: 1-line block ×4, first 2 shown]
	v_fma_f64 v[48:49], v[168:169], s[6:7], v[42:43]
	v_fma_f64 v[82:83], v[152:153], s[4:5], v[86:87]
	;; [unrolled: 1-line block ×11, first 2 shown]
	global_store_dwordx4 v[187:188], v[24:27], off offset:304
	global_store_dwordx4 v[189:190], v[16:19], off offset:608
	;; [unrolled: 1-line block ×4, first 2 shown]
	v_fma_f64 v[18:19], v[102:103], s[4:5], v[88:89]
	v_fma_f64 v[16:17], v[136:137], s[4:5], v[98:99]
	;; [unrolled: 1-line block ×10, first 2 shown]
	global_store_dwordx4 v[184:185], v[0:3], off offset:1760
	global_store_dwordx4 v[184:185], v[28:31], off offset:880
	;; [unrolled: 1-line block ×7, first 2 shown]
	v_add_nc_u32_e32 v2, v180, v245
	v_fma_f64 v[54:55], v[156:157], s[4:5], v[128:129]
	v_fma_f64 v[52:53], v[174:175], s[4:5], v[52:53]
	;; [unrolled: 1-line block ×4, first 2 shown]
	v_lshrrev_b32_e32 v24, 8, v2
	v_add_co_u32 v0, vcc_lo, 0x2800, v184
	v_add_co_ci_u32_e32 v1, vcc_lo, 0, v185, vcc_lo
	v_add_co_u32 v2, vcc_lo, 0x3800, v184
	v_mad_u32_u24 v180, 0x44c, v24, v186
	v_add_co_ci_u32_e32 v3, vcc_lo, 0, v185, vcc_lo
	v_add_co_u32 v24, vcc_lo, 0x800, v184
	global_store_dwordx4 v[0:1], v[16:19], off offset:320
	global_store_dwordx4 v[2:3], v[12:15], off offset:624
	;; [unrolled: 1-line block ×3, first 2 shown]
	v_lshlrev_b64 v[12:13], 4, v[180:181]
	v_fma_f64 v[58:59], v[170:171], s[4:5], v[130:131]
	v_fma_f64 v[56:57], v[199:200], s[4:5], v[138:139]
	v_add_co_ci_u32_e32 v25, vcc_lo, 0, v185, vcc_lo
	v_fma_f64 v[46:47], v[112:113], s[4:5], v[104:105]
	v_fma_f64 v[44:45], v[132:133], s[4:5], v[126:127]
	;; [unrolled: 1-line block ×8, first 2 shown]
	global_store_dwordx4 v[24:25], v[8:11], off offset:592
	global_store_dwordx4 v[197:198], v[84:87], off offset:896
	;; [unrolled: 1-line block ×4, first 2 shown]
	v_add_co_u32 v0, vcc_lo, v70, v12
	v_add_co_ci_u32_e32 v1, vcc_lo, v71, v13, vcc_lo
	v_add_co_u32 v2, vcc_lo, 0x1000, v0
	v_add_co_ci_u32_e32 v3, vcc_lo, 0, v1, vcc_lo
	;; [unrolled: 2-line block ×5, first 2 shown]
	global_store_dwordx4 v[195:196], v[56:59], off offset:1808
	global_store_dwordx4 v[0:1], v[4:7], off
	global_store_dwordx4 v[2:3], v[44:47], off offset:304
	global_store_dwordx4 v[8:9], v[36:39], off offset:608
	;; [unrolled: 1-line block ×4, first 2 shown]
.LBB0_19:
	s_endpgm
	.section	.rodata,"a",@progbits
	.p2align	6, 0x0
	.amdhsa_kernel fft_rtc_back_len1375_factors_11_5_5_5_wgs_55_tpt_55_halfLds_dp_ip_CI_unitstride_sbrr_dirReg
		.amdhsa_group_segment_fixed_size 0
		.amdhsa_private_segment_fixed_size 0
		.amdhsa_kernarg_size 88
		.amdhsa_user_sgpr_count 6
		.amdhsa_user_sgpr_private_segment_buffer 1
		.amdhsa_user_sgpr_dispatch_ptr 0
		.amdhsa_user_sgpr_queue_ptr 0
		.amdhsa_user_sgpr_kernarg_segment_ptr 1
		.amdhsa_user_sgpr_dispatch_id 0
		.amdhsa_user_sgpr_flat_scratch_init 0
		.amdhsa_user_sgpr_private_segment_size 0
		.amdhsa_wavefront_size32 1
		.amdhsa_uses_dynamic_stack 0
		.amdhsa_system_sgpr_private_segment_wavefront_offset 0
		.amdhsa_system_sgpr_workgroup_id_x 1
		.amdhsa_system_sgpr_workgroup_id_y 0
		.amdhsa_system_sgpr_workgroup_id_z 0
		.amdhsa_system_sgpr_workgroup_info 0
		.amdhsa_system_vgpr_workitem_id 0
		.amdhsa_next_free_vgpr 252
		.amdhsa_next_free_sgpr 38
		.amdhsa_reserve_vcc 1
		.amdhsa_reserve_flat_scratch 0
		.amdhsa_float_round_mode_32 0
		.amdhsa_float_round_mode_16_64 0
		.amdhsa_float_denorm_mode_32 3
		.amdhsa_float_denorm_mode_16_64 3
		.amdhsa_dx10_clamp 1
		.amdhsa_ieee_mode 1
		.amdhsa_fp16_overflow 0
		.amdhsa_workgroup_processor_mode 1
		.amdhsa_memory_ordered 1
		.amdhsa_forward_progress 0
		.amdhsa_shared_vgpr_count 0
		.amdhsa_exception_fp_ieee_invalid_op 0
		.amdhsa_exception_fp_denorm_src 0
		.amdhsa_exception_fp_ieee_div_zero 0
		.amdhsa_exception_fp_ieee_overflow 0
		.amdhsa_exception_fp_ieee_underflow 0
		.amdhsa_exception_fp_ieee_inexact 0
		.amdhsa_exception_int_div_zero 0
	.end_amdhsa_kernel
	.text
.Lfunc_end0:
	.size	fft_rtc_back_len1375_factors_11_5_5_5_wgs_55_tpt_55_halfLds_dp_ip_CI_unitstride_sbrr_dirReg, .Lfunc_end0-fft_rtc_back_len1375_factors_11_5_5_5_wgs_55_tpt_55_halfLds_dp_ip_CI_unitstride_sbrr_dirReg
                                        ; -- End function
	.section	.AMDGPU.csdata,"",@progbits
; Kernel info:
; codeLenInByte = 21696
; NumSgprs: 40
; NumVgprs: 252
; ScratchSize: 0
; MemoryBound: 1
; FloatMode: 240
; IeeeMode: 1
; LDSByteSize: 0 bytes/workgroup (compile time only)
; SGPRBlocks: 4
; VGPRBlocks: 31
; NumSGPRsForWavesPerEU: 40
; NumVGPRsForWavesPerEU: 252
; Occupancy: 4
; WaveLimiterHint : 1
; COMPUTE_PGM_RSRC2:SCRATCH_EN: 0
; COMPUTE_PGM_RSRC2:USER_SGPR: 6
; COMPUTE_PGM_RSRC2:TRAP_HANDLER: 0
; COMPUTE_PGM_RSRC2:TGID_X_EN: 1
; COMPUTE_PGM_RSRC2:TGID_Y_EN: 0
; COMPUTE_PGM_RSRC2:TGID_Z_EN: 0
; COMPUTE_PGM_RSRC2:TIDIG_COMP_CNT: 0
	.text
	.p2alignl 6, 3214868480
	.fill 48, 4, 3214868480
	.type	__hip_cuid_75fb0b25e81716f,@object ; @__hip_cuid_75fb0b25e81716f
	.section	.bss,"aw",@nobits
	.globl	__hip_cuid_75fb0b25e81716f
__hip_cuid_75fb0b25e81716f:
	.byte	0                               ; 0x0
	.size	__hip_cuid_75fb0b25e81716f, 1

	.ident	"AMD clang version 19.0.0git (https://github.com/RadeonOpenCompute/llvm-project roc-6.4.0 25133 c7fe45cf4b819c5991fe208aaa96edf142730f1d)"
	.section	".note.GNU-stack","",@progbits
	.addrsig
	.addrsig_sym __hip_cuid_75fb0b25e81716f
	.amdgpu_metadata
---
amdhsa.kernels:
  - .args:
      - .actual_access:  read_only
        .address_space:  global
        .offset:         0
        .size:           8
        .value_kind:     global_buffer
      - .offset:         8
        .size:           8
        .value_kind:     by_value
      - .actual_access:  read_only
        .address_space:  global
        .offset:         16
        .size:           8
        .value_kind:     global_buffer
      - .actual_access:  read_only
        .address_space:  global
        .offset:         24
        .size:           8
        .value_kind:     global_buffer
      - .offset:         32
        .size:           8
        .value_kind:     by_value
      - .actual_access:  read_only
        .address_space:  global
        .offset:         40
        .size:           8
        .value_kind:     global_buffer
      - .actual_access:  read_only
        .address_space:  global
        .offset:         48
        .size:           8
        .value_kind:     global_buffer
      - .offset:         56
        .size:           4
        .value_kind:     by_value
      - .actual_access:  read_only
        .address_space:  global
        .offset:         64
        .size:           8
        .value_kind:     global_buffer
      - .actual_access:  read_only
        .address_space:  global
        .offset:         72
        .size:           8
        .value_kind:     global_buffer
      - .address_space:  global
        .offset:         80
        .size:           8
        .value_kind:     global_buffer
    .group_segment_fixed_size: 0
    .kernarg_segment_align: 8
    .kernarg_segment_size: 88
    .language:       OpenCL C
    .language_version:
      - 2
      - 0
    .max_flat_workgroup_size: 55
    .name:           fft_rtc_back_len1375_factors_11_5_5_5_wgs_55_tpt_55_halfLds_dp_ip_CI_unitstride_sbrr_dirReg
    .private_segment_fixed_size: 0
    .sgpr_count:     40
    .sgpr_spill_count: 0
    .symbol:         fft_rtc_back_len1375_factors_11_5_5_5_wgs_55_tpt_55_halfLds_dp_ip_CI_unitstride_sbrr_dirReg.kd
    .uniform_work_group_size: 1
    .uses_dynamic_stack: false
    .vgpr_count:     252
    .vgpr_spill_count: 0
    .wavefront_size: 32
    .workgroup_processor_mode: 1
amdhsa.target:   amdgcn-amd-amdhsa--gfx1030
amdhsa.version:
  - 1
  - 2
...

	.end_amdgpu_metadata
